;; amdgpu-corpus repo=ROCm/rocFFT kind=compiled arch=gfx1030 opt=O3
	.text
	.amdgcn_target "amdgcn-amd-amdhsa--gfx1030"
	.amdhsa_code_object_version 6
	.protected	fft_rtc_fwd_len2700_factors_3_10_10_3_3_wgs_90_tpt_90_halfLds_half_ip_CI_sbrr_dirReg ; -- Begin function fft_rtc_fwd_len2700_factors_3_10_10_3_3_wgs_90_tpt_90_halfLds_half_ip_CI_sbrr_dirReg
	.globl	fft_rtc_fwd_len2700_factors_3_10_10_3_3_wgs_90_tpt_90_halfLds_half_ip_CI_sbrr_dirReg
	.p2align	8
	.type	fft_rtc_fwd_len2700_factors_3_10_10_3_3_wgs_90_tpt_90_halfLds_half_ip_CI_sbrr_dirReg,@function
fft_rtc_fwd_len2700_factors_3_10_10_3_3_wgs_90_tpt_90_halfLds_half_ip_CI_sbrr_dirReg: ; @fft_rtc_fwd_len2700_factors_3_10_10_3_3_wgs_90_tpt_90_halfLds_half_ip_CI_sbrr_dirReg
; %bb.0:
	s_clause 0x2
	s_load_dwordx2 s[14:15], s[4:5], 0x18
	s_load_dwordx4 s[8:11], s[4:5], 0x0
	s_load_dwordx2 s[12:13], s[4:5], 0x50
	v_mul_u32_u24_e32 v1, 0x2d9, v0
	v_mov_b32_e32 v3, 0
	v_add_nc_u32_sdwa v5, s6, v1 dst_sel:DWORD dst_unused:UNUSED_PAD src0_sel:DWORD src1_sel:WORD_1
	v_mov_b32_e32 v1, 0
	v_mov_b32_e32 v6, v3
	v_mov_b32_e32 v2, 0
	s_waitcnt lgkmcnt(0)
	s_load_dwordx2 s[2:3], s[14:15], 0x0
	v_cmp_lt_u64_e64 s0, s[10:11], 2
	s_and_b32 vcc_lo, exec_lo, s0
	s_cbranch_vccnz .LBB0_8
; %bb.1:
	s_load_dwordx2 s[0:1], s[4:5], 0x10
	v_mov_b32_e32 v1, 0
	s_add_u32 s6, s14, 8
	v_mov_b32_e32 v2, 0
	s_addc_u32 s7, s15, 0
	s_mov_b64 s[18:19], 1
	s_waitcnt lgkmcnt(0)
	s_add_u32 s16, s0, 8
	s_addc_u32 s17, s1, 0
.LBB0_2:                                ; =>This Inner Loop Header: Depth=1
	s_load_dwordx2 s[20:21], s[16:17], 0x0
                                        ; implicit-def: $vgpr7_vgpr8
	s_mov_b32 s0, exec_lo
	s_waitcnt lgkmcnt(0)
	v_or_b32_e32 v4, s21, v6
	v_cmpx_ne_u64_e32 0, v[3:4]
	s_xor_b32 s1, exec_lo, s0
	s_cbranch_execz .LBB0_4
; %bb.3:                                ;   in Loop: Header=BB0_2 Depth=1
	v_cvt_f32_u32_e32 v4, s20
	v_cvt_f32_u32_e32 v7, s21
	s_sub_u32 s0, 0, s20
	s_subb_u32 s22, 0, s21
	v_fmac_f32_e32 v4, 0x4f800000, v7
	v_rcp_f32_e32 v4, v4
	v_mul_f32_e32 v4, 0x5f7ffffc, v4
	v_mul_f32_e32 v7, 0x2f800000, v4
	v_trunc_f32_e32 v7, v7
	v_fmac_f32_e32 v4, 0xcf800000, v7
	v_cvt_u32_f32_e32 v7, v7
	v_cvt_u32_f32_e32 v4, v4
	v_mul_lo_u32 v8, s0, v7
	v_mul_hi_u32 v9, s0, v4
	v_mul_lo_u32 v10, s22, v4
	v_add_nc_u32_e32 v8, v9, v8
	v_mul_lo_u32 v9, s0, v4
	v_add_nc_u32_e32 v8, v8, v10
	v_mul_hi_u32 v10, v4, v9
	v_mul_lo_u32 v11, v4, v8
	v_mul_hi_u32 v12, v4, v8
	v_mul_hi_u32 v13, v7, v9
	v_mul_lo_u32 v9, v7, v9
	v_mul_hi_u32 v14, v7, v8
	v_mul_lo_u32 v8, v7, v8
	v_add_co_u32 v10, vcc_lo, v10, v11
	v_add_co_ci_u32_e32 v11, vcc_lo, 0, v12, vcc_lo
	v_add_co_u32 v9, vcc_lo, v10, v9
	v_add_co_ci_u32_e32 v9, vcc_lo, v11, v13, vcc_lo
	v_add_co_ci_u32_e32 v10, vcc_lo, 0, v14, vcc_lo
	v_add_co_u32 v8, vcc_lo, v9, v8
	v_add_co_ci_u32_e32 v9, vcc_lo, 0, v10, vcc_lo
	v_add_co_u32 v4, vcc_lo, v4, v8
	v_add_co_ci_u32_e32 v7, vcc_lo, v7, v9, vcc_lo
	v_mul_hi_u32 v8, s0, v4
	v_mul_lo_u32 v10, s22, v4
	v_mul_lo_u32 v9, s0, v7
	v_add_nc_u32_e32 v8, v8, v9
	v_mul_lo_u32 v9, s0, v4
	v_add_nc_u32_e32 v8, v8, v10
	v_mul_hi_u32 v10, v4, v9
	v_mul_lo_u32 v11, v4, v8
	v_mul_hi_u32 v12, v4, v8
	v_mul_hi_u32 v13, v7, v9
	v_mul_lo_u32 v9, v7, v9
	v_mul_hi_u32 v14, v7, v8
	v_mul_lo_u32 v8, v7, v8
	v_add_co_u32 v10, vcc_lo, v10, v11
	v_add_co_ci_u32_e32 v11, vcc_lo, 0, v12, vcc_lo
	v_add_co_u32 v9, vcc_lo, v10, v9
	v_add_co_ci_u32_e32 v9, vcc_lo, v11, v13, vcc_lo
	v_add_co_ci_u32_e32 v10, vcc_lo, 0, v14, vcc_lo
	v_add_co_u32 v8, vcc_lo, v9, v8
	v_add_co_ci_u32_e32 v9, vcc_lo, 0, v10, vcc_lo
	v_add_co_u32 v4, vcc_lo, v4, v8
	v_add_co_ci_u32_e32 v11, vcc_lo, v7, v9, vcc_lo
	v_mul_hi_u32 v13, v5, v4
	v_mad_u64_u32 v[9:10], null, v6, v4, 0
	v_mad_u64_u32 v[7:8], null, v5, v11, 0
	;; [unrolled: 1-line block ×3, first 2 shown]
	v_add_co_u32 v4, vcc_lo, v13, v7
	v_add_co_ci_u32_e32 v7, vcc_lo, 0, v8, vcc_lo
	v_add_co_u32 v4, vcc_lo, v4, v9
	v_add_co_ci_u32_e32 v4, vcc_lo, v7, v10, vcc_lo
	v_add_co_ci_u32_e32 v7, vcc_lo, 0, v12, vcc_lo
	v_add_co_u32 v4, vcc_lo, v4, v11
	v_add_co_ci_u32_e32 v9, vcc_lo, 0, v7, vcc_lo
	v_mul_lo_u32 v10, s21, v4
	v_mad_u64_u32 v[7:8], null, s20, v4, 0
	v_mul_lo_u32 v11, s20, v9
	v_sub_co_u32 v7, vcc_lo, v5, v7
	v_add3_u32 v8, v8, v11, v10
	v_sub_nc_u32_e32 v10, v6, v8
	v_subrev_co_ci_u32_e64 v10, s0, s21, v10, vcc_lo
	v_add_co_u32 v11, s0, v4, 2
	v_add_co_ci_u32_e64 v12, s0, 0, v9, s0
	v_sub_co_u32 v13, s0, v7, s20
	v_sub_co_ci_u32_e32 v8, vcc_lo, v6, v8, vcc_lo
	v_subrev_co_ci_u32_e64 v10, s0, 0, v10, s0
	v_cmp_le_u32_e32 vcc_lo, s20, v13
	v_cmp_eq_u32_e64 s0, s21, v8
	v_cndmask_b32_e64 v13, 0, -1, vcc_lo
	v_cmp_le_u32_e32 vcc_lo, s21, v10
	v_cndmask_b32_e64 v14, 0, -1, vcc_lo
	v_cmp_le_u32_e32 vcc_lo, s20, v7
	;; [unrolled: 2-line block ×3, first 2 shown]
	v_cndmask_b32_e64 v15, 0, -1, vcc_lo
	v_cmp_eq_u32_e32 vcc_lo, s21, v10
	v_cndmask_b32_e64 v7, v15, v7, s0
	v_cndmask_b32_e32 v10, v14, v13, vcc_lo
	v_add_co_u32 v13, vcc_lo, v4, 1
	v_add_co_ci_u32_e32 v14, vcc_lo, 0, v9, vcc_lo
	v_cmp_ne_u32_e32 vcc_lo, 0, v10
	v_cndmask_b32_e32 v8, v14, v12, vcc_lo
	v_cndmask_b32_e32 v10, v13, v11, vcc_lo
	v_cmp_ne_u32_e32 vcc_lo, 0, v7
	v_cndmask_b32_e32 v8, v9, v8, vcc_lo
	v_cndmask_b32_e32 v7, v4, v10, vcc_lo
.LBB0_4:                                ;   in Loop: Header=BB0_2 Depth=1
	s_andn2_saveexec_b32 s0, s1
	s_cbranch_execz .LBB0_6
; %bb.5:                                ;   in Loop: Header=BB0_2 Depth=1
	v_cvt_f32_u32_e32 v4, s20
	s_sub_i32 s1, 0, s20
	v_rcp_iflag_f32_e32 v4, v4
	v_mul_f32_e32 v4, 0x4f7ffffe, v4
	v_cvt_u32_f32_e32 v4, v4
	v_mul_lo_u32 v7, s1, v4
	v_mul_hi_u32 v7, v4, v7
	v_add_nc_u32_e32 v4, v4, v7
	v_mul_hi_u32 v4, v5, v4
	v_mul_lo_u32 v7, v4, s20
	v_add_nc_u32_e32 v8, 1, v4
	v_sub_nc_u32_e32 v7, v5, v7
	v_subrev_nc_u32_e32 v9, s20, v7
	v_cmp_le_u32_e32 vcc_lo, s20, v7
	v_cndmask_b32_e32 v7, v7, v9, vcc_lo
	v_cndmask_b32_e32 v4, v4, v8, vcc_lo
	v_cmp_le_u32_e32 vcc_lo, s20, v7
	v_add_nc_u32_e32 v8, 1, v4
	v_cndmask_b32_e32 v7, v4, v8, vcc_lo
	v_mov_b32_e32 v8, v3
.LBB0_6:                                ;   in Loop: Header=BB0_2 Depth=1
	s_or_b32 exec_lo, exec_lo, s0
	s_load_dwordx2 s[0:1], s[6:7], 0x0
	v_mul_lo_u32 v4, v8, s20
	v_mul_lo_u32 v11, v7, s21
	v_mad_u64_u32 v[9:10], null, v7, s20, 0
	s_add_u32 s18, s18, 1
	s_addc_u32 s19, s19, 0
	s_add_u32 s6, s6, 8
	s_addc_u32 s7, s7, 0
	;; [unrolled: 2-line block ×3, first 2 shown]
	v_add3_u32 v4, v10, v11, v4
	v_sub_co_u32 v5, vcc_lo, v5, v9
	v_sub_co_ci_u32_e32 v4, vcc_lo, v6, v4, vcc_lo
	s_waitcnt lgkmcnt(0)
	v_mul_lo_u32 v6, s1, v5
	v_mul_lo_u32 v4, s0, v4
	v_mad_u64_u32 v[1:2], null, s0, v5, v[1:2]
	v_cmp_ge_u64_e64 s0, s[18:19], s[10:11]
	s_and_b32 vcc_lo, exec_lo, s0
	v_add3_u32 v2, v6, v2, v4
	s_cbranch_vccnz .LBB0_9
; %bb.7:                                ;   in Loop: Header=BB0_2 Depth=1
	v_mov_b32_e32 v5, v7
	v_mov_b32_e32 v6, v8
	s_branch .LBB0_2
.LBB0_8:
	v_mov_b32_e32 v8, v6
	v_mov_b32_e32 v7, v5
.LBB0_9:
	s_lshl_b64 s[0:1], s[10:11], 3
	v_mul_hi_u32 v3, 0x2d82d83, v0
	s_add_u32 s0, s14, s0
	s_addc_u32 s1, s15, s1
	s_load_dwordx2 s[4:5], s[4:5], 0x20
	s_load_dwordx2 s[0:1], s[0:1], 0x0
                                        ; implicit-def: $vgpr5
                                        ; implicit-def: $vgpr44
                                        ; implicit-def: $vgpr45
                                        ; implicit-def: $vgpr46
                                        ; implicit-def: $vgpr47
                                        ; implicit-def: $vgpr48
                                        ; implicit-def: $vgpr49
                                        ; implicit-def: $vgpr50
	v_mul_u32_u24_e32 v3, 0x5a, v3
	v_sub_nc_u32_e32 v41, v0, v3
	v_add_nc_u32_e32 v38, 0x5a, v41
	v_add_nc_u32_e32 v35, 0xb4, v41
	;; [unrolled: 1-line block ×5, first 2 shown]
	s_waitcnt lgkmcnt(0)
	v_cmp_gt_u64_e32 vcc_lo, s[4:5], v[7:8]
	v_mul_lo_u32 v3, s0, v8
	v_mul_lo_u32 v4, s1, v7
	v_mad_u64_u32 v[0:1], null, s0, v7, v[1:2]
	v_cmp_le_u64_e64 s0, s[4:5], v[7:8]
	v_add_nc_u32_e32 v25, 0x21c, v41
	v_add_nc_u32_e32 v22, 0x276, v41
	;; [unrolled: 1-line block ×4, first 2 shown]
	v_add3_u32 v1, v4, v1, v3
                                        ; implicit-def: $vgpr3
	s_and_saveexec_b32 s1, s0
	s_xor_b32 s0, exec_lo, s1
; %bb.10:
	v_add_nc_u32_e32 v5, 0x5a, v41
	v_add_nc_u32_e32 v3, 0xb4, v41
	;; [unrolled: 1-line block ×9, first 2 shown]
; %bb.11:
	s_or_saveexec_b32 s1, s0
	v_lshlrev_b64 v[0:1], 2, v[0:1]
	v_add_nc_u32_e32 v43, 0x384, v41
	v_add_nc_u32_e32 v42, 0x708, v41
	;; [unrolled: 1-line block ×14, first 2 shown]
                                        ; implicit-def: $vgpr107
                                        ; implicit-def: $vgpr104
                                        ; implicit-def: $vgpr109
                                        ; implicit-def: $vgpr103
                                        ; implicit-def: $vgpr16
                                        ; implicit-def: $vgpr55
                                        ; implicit-def: $vgpr108
                                        ; implicit-def: $vgpr105
                                        ; implicit-def: $vgpr110
                                        ; implicit-def: $vgpr106
                                        ; implicit-def: $vgpr19
                                        ; implicit-def: $vgpr56
                                        ; implicit-def: $vgpr111
                                        ; implicit-def: $vgpr84
                                        ; implicit-def: $vgpr113
                                        ; implicit-def: $vgpr89
                                        ; implicit-def: $vgpr63
                                        ; implicit-def: $vgpr54
                                        ; implicit-def: $vgpr112
                                        ; implicit-def: $vgpr91
                                        ; implicit-def: $vgpr114
                                        ; implicit-def: $vgpr92
                                        ; implicit-def: $vgpr80
                                        ; implicit-def: $vgpr53
                                        ; implicit-def: $vgpr115
                                        ; implicit-def: $vgpr99
                                        ; implicit-def: $vgpr117
                                        ; implicit-def: $vgpr100
                                        ; implicit-def: $vgpr88
                                        ; implicit-def: $vgpr10
                                        ; implicit-def: $vgpr116
                                        ; implicit-def: $vgpr11
                                        ; implicit-def: $vgpr118
                                        ; implicit-def: $vgpr12
                                        ; implicit-def: $vgpr93
                                        ; implicit-def: $vgpr17
                                        ; implicit-def: $vgpr119
                                        ; implicit-def: $vgpr13
                                        ; implicit-def: $vgpr121
                                        ; implicit-def: $vgpr14
                                        ; implicit-def: $vgpr96
                                        ; implicit-def: $vgpr18
                                        ; implicit-def: $vgpr120
                                        ; implicit-def: $vgpr15
                                        ; implicit-def: $vgpr122
                                        ; implicit-def: $vgpr7
                                        ; implicit-def: $vgpr97
                                        ; implicit-def: $vgpr2
                                        ; implicit-def: $vgpr123
                                        ; implicit-def: $vgpr8
                                        ; implicit-def: $vgpr124
                                        ; implicit-def: $vgpr9
                                        ; implicit-def: $vgpr101
                                        ; implicit-def: $vgpr4
                                        ; implicit-def: $vgpr57
                                        ; implicit-def: $vgpr51
                                        ; implicit-def: $vgpr58
                                        ; implicit-def: $vgpr52
                                        ; implicit-def: $vgpr125
                                        ; implicit-def: $vgpr6
	s_xor_b32 exec_lo, exec_lo, s1
	s_cbranch_execz .LBB0_13
; %bb.12:
	v_mad_u64_u32 v[6:7], null, s2, v41, 0
	v_mad_u64_u32 v[8:9], null, s2, v43, 0
	;; [unrolled: 1-line block ×4, first 2 shown]
	v_mov_b32_e32 v2, v7
	v_mad_u64_u32 v[44:45], null, s2, v35, 0
	v_mov_b32_e32 v3, v9
	v_mad_u64_u32 v[46:47], null, s2, v37, 0
	v_mad_u64_u32 v[53:54], null, s2, v34, 0
	;; [unrolled: 1-line block ×3, first 2 shown]
	v_mov_b32_e32 v2, v11
	v_add_nc_u32_e32 v61, 0x8ca, v41
	v_mad_u64_u32 v[70:71], null, s2, v20, 0
	v_mad_u64_u32 v[14:15], null, s3, v43, v[3:4]
	;; [unrolled: 1-line block ×3, first 2 shown]
	v_add_co_u32 v3, s0, s12, v0
	v_mov_b32_e32 v7, v4
	v_add_co_ci_u32_e64 v5, s0, s13, v1, s0
	v_mov_b32_e32 v4, v13
	v_mov_b32_e32 v9, v14
	v_mad_u64_u32 v[14:15], null, s2, v40, 0
	v_mov_b32_e32 v11, v2
	v_mad_u64_u32 v[16:17], null, s3, v38, v[4:5]
	v_mad_u64_u32 v[17:18], null, s2, v39, 0
	v_lshlrev_b64 v[6:7], 2, v[6:7]
	v_mov_b32_e32 v2, v15
	v_lshlrev_b64 v[8:9], 2, v[8:9]
	v_lshlrev_b64 v[10:11], 2, v[10:11]
	v_mov_b32_e32 v13, v16
	v_mad_u64_u32 v[15:16], null, s3, v40, v[2:3]
	v_mov_b32_e32 v2, v18
	v_add_co_u32 v6, s0, v3, v6
	v_add_co_ci_u32_e64 v7, s0, v5, v7, s0
	v_mad_u64_u32 v[18:19], null, s3, v39, v[2:3]
	v_mov_b32_e32 v2, v45
	v_add_co_u32 v8, s0, v3, v8
	v_lshlrev_b64 v[12:13], 2, v[12:13]
	v_add_co_ci_u32_e64 v9, s0, v5, v9, s0
	v_mad_u64_u32 v[48:49], null, s3, v35, v[2:3]
	v_mov_b32_e32 v2, v47
	v_lshlrev_b64 v[16:17], 2, v[17:18]
	v_mad_u64_u32 v[49:50], null, s2, v36, 0
	v_add_co_u32 v10, s0, v3, v10
	v_mad_u64_u32 v[18:19], null, s3, v37, v[2:3]
	v_mov_b32_e32 v45, v48
	v_lshlrev_b64 v[14:15], 2, v[14:15]
	v_add_co_ci_u32_e64 v11, s0, v5, v11, s0
	v_add_co_u32 v12, s0, v3, v12
	v_mov_b32_e32 v47, v18
	v_lshlrev_b64 v[18:19], 2, v[44:45]
	v_mad_u64_u32 v[44:45], null, s2, v32, 0
	v_add_co_ci_u32_e64 v13, s0, v5, v13, s0
	v_add_co_u32 v14, s0, v3, v14
	v_mov_b32_e32 v2, v50
	v_add_co_ci_u32_e64 v15, s0, v5, v15, s0
	v_add_co_u32 v16, s0, v3, v16
	v_lshlrev_b64 v[46:47], 2, v[46:47]
	v_add_co_ci_u32_e64 v17, s0, v5, v17, s0
	v_mad_u64_u32 v[50:51], null, s3, v36, v[2:3]
	v_add_co_u32 v18, s0, v3, v18
	v_mov_b32_e32 v2, v45
	v_add_co_ci_u32_e64 v19, s0, v5, v19, s0
	v_add_co_u32 v45, s0, v3, v46
	v_add_co_ci_u32_e64 v46, s0, v5, v47, s0
	v_mad_u64_u32 v[47:48], null, s3, v32, v[2:3]
	s_clause 0x7
	global_load_dword v6, v[6:7], off
	global_load_dword v52, v[8:9], off
	;; [unrolled: 1-line block ×8, first 2 shown]
	v_mad_u64_u32 v[13:14], null, s2, v33, 0
	v_mov_b32_e32 v12, v54
	v_mad_u64_u32 v[18:19], null, s2, v29, 0
	v_lshlrev_b64 v[10:11], 2, v[49:50]
	v_mov_b32_e32 v45, v47
	v_mad_u64_u32 v[46:47], null, s2, v31, 0
	v_mad_u64_u32 v[15:16], null, s3, v34, v[12:13]
	v_mov_b32_e32 v12, v14
	v_lshlrev_b64 v[16:17], 2, v[44:45]
	v_add_co_u32 v10, s0, v3, v10
	v_add_co_ci_u32_e64 v11, s0, v5, v11, s0
	v_mov_b32_e32 v54, v15
	v_mad_u64_u32 v[14:15], null, s3, v33, v[12:13]
	v_mov_b32_e32 v12, v19
	v_add_co_u32 v16, s0, v3, v16
	v_lshlrev_b64 v[44:45], 2, v[53:54]
	v_mad_u64_u32 v[53:54], null, s2, v28, 0
	v_mad_u64_u32 v[48:49], null, s3, v29, v[12:13]
	v_lshlrev_b64 v[12:13], 2, v[13:14]
	v_mov_b32_e32 v14, v47
	v_add_co_ci_u32_e64 v17, s0, v5, v17, s0
	v_add_co_u32 v44, s0, v3, v44
	v_mov_b32_e32 v19, v48
	v_mad_u64_u32 v[48:49], null, s2, v30, 0
	v_mad_u64_u32 v[14:15], null, s3, v31, v[14:15]
	v_lshlrev_b64 v[18:19], 2, v[18:19]
	v_add_co_ci_u32_e64 v45, s0, v5, v45, s0
	v_add_co_u32 v12, s0, v3, v12
	v_mov_b32_e32 v15, v49
	v_mov_b32_e32 v47, v14
	v_add_co_ci_u32_e64 v13, s0, v5, v13, s0
	v_add_co_u32 v55, s0, v3, v18
	v_mad_u64_u32 v[14:15], null, s3, v30, v[15:16]
	v_mov_b32_e32 v15, v54
	v_add_nc_u32_e32 v50, 0x546, v41
	v_add_co_ci_u32_e64 v56, s0, v5, v19, s0
	v_lshlrev_b64 v[18:19], 2, v[46:47]
	v_mov_b32_e32 v49, v14
	v_mad_u64_u32 v[14:15], null, s3, v28, v[15:16]
	v_mad_u64_u32 v[46:47], null, s2, v50, 0
	v_add_co_u32 v57, s0, v3, v18
	v_add_co_ci_u32_e64 v58, s0, v5, v19, s0
	v_lshlrev_b64 v[18:19], 2, v[48:49]
	v_mov_b32_e32 v54, v14
	v_mov_b32_e32 v14, v47
	v_mad_u64_u32 v[48:49], null, s2, v61, 0
	v_add_co_u32 v59, s0, v3, v18
	v_add_co_ci_u32_e64 v60, s0, v5, v19, s0
	v_lshlrev_b64 v[18:19], 2, v[53:54]
	v_mad_u64_u32 v[14:15], null, s3, v50, v[14:15]
	v_mov_b32_e32 v15, v49
	v_mad_u64_u32 v[53:54], null, s2, v25, 0
	v_add_co_u32 v49, s0, v3, v18
	v_add_co_ci_u32_e64 v50, s0, v5, v19, s0
	v_mov_b32_e32 v47, v14
	v_mad_u64_u32 v[61:62], null, s3, v61, v[15:16]
	s_clause 0x7
	global_load_dword v15, v[10:11], off
	global_load_dword v18, v[16:17], off
	;; [unrolled: 1-line block ×8, first 2 shown]
	v_mad_u64_u32 v[62:63], null, s2, v27, 0
	v_mov_b32_e32 v19, v54
	v_mad_u64_u32 v[55:56], null, s2, v26, 0
	v_mov_b32_e32 v49, v61
	v_lshlrev_b64 v[44:45], 2, v[46:47]
	v_mad_u64_u32 v[46:47], null, s3, v25, v[19:20]
	v_mov_b32_e32 v16, v63
	v_lshlrev_b64 v[47:48], 2, v[48:49]
	v_mad_u64_u32 v[57:58], null, s2, v22, 0
	v_add_co_u32 v44, s0, v3, v44
	v_add_co_ci_u32_e64 v45, s0, v5, v45, s0
	v_mov_b32_e32 v54, v46
	v_add_co_u32 v46, s0, v3, v47
	v_add_co_ci_u32_e64 v47, s0, v5, v48, s0
	v_lshlrev_b64 v[53:54], 2, v[53:54]
	v_add_nc_u32_e32 v19, 0x654, v41
	v_add_co_u32 v53, s0, v3, v53
	v_add_co_ci_u32_e64 v54, s0, v5, v54, s0
	s_waitcnt vmcnt(15)
	v_lshrrev_b32_e32 v125, 16, v6
	s_waitcnt vmcnt(12)
	v_lshrrev_b32_e32 v101, 16, v4
	s_waitcnt vmcnt(11)
	v_lshrrev_b32_e32 v124, 16, v9
	s_waitcnt vmcnt(10)
	v_lshrrev_b32_e32 v123, 16, v8
	s_waitcnt vmcnt(9)
	v_lshrrev_b32_e32 v97, 16, v2
	s_waitcnt vmcnt(8)
	v_lshrrev_b32_e32 v122, 16, v7
	s_waitcnt vmcnt(7)
	v_lshrrev_b32_e32 v120, 16, v15
	s_waitcnt vmcnt(6)
	v_lshrrev_b32_e32 v96, 16, v18
	s_waitcnt vmcnt(5)
	v_lshrrev_b32_e32 v121, 16, v14
	s_waitcnt vmcnt(4)
	v_lshrrev_b32_e32 v119, 16, v13
	s_waitcnt vmcnt(3)
	v_mad_u64_u32 v[49:50], null, s3, v27, v[16:17]
	v_mov_b32_e32 v16, v56
	v_lshrrev_b32_e32 v93, 16, v17
	s_waitcnt vmcnt(2)
	v_lshrrev_b32_e32 v118, 16, v12
	s_waitcnt vmcnt(1)
	;; [unrolled: 2-line block ×3, first 2 shown]
	v_lshrrev_b32_e32 v88, 16, v10
	v_mov_b32_e32 v63, v49
	v_mad_u64_u32 v[48:49], null, s3, v26, v[16:17]
	v_mov_b32_e32 v16, v58
	v_mad_u64_u32 v[49:50], null, s2, v24, 0
	v_lshlrev_b64 v[58:59], 2, v[62:63]
	v_mad_u64_u32 v[60:61], null, s3, v22, v[16:17]
	v_mad_u64_u32 v[61:62], null, s2, v23, 0
	v_mov_b32_e32 v16, v50
	v_add_co_u32 v63, s0, v3, v58
	v_add_co_ci_u32_e64 v64, s0, v5, v59, s0
	v_mad_u64_u32 v[65:66], null, s3, v24, v[16:17]
	v_mov_b32_e32 v16, v62
	v_mov_b32_e32 v58, v60
	;; [unrolled: 1-line block ×3, first 2 shown]
	v_mad_u64_u32 v[59:60], null, s3, v23, v[16:17]
	v_mov_b32_e32 v50, v65
	v_mad_u64_u32 v[65:66], null, s2, v21, 0
	v_lshlrev_b64 v[55:56], 2, v[55:56]
	v_lshlrev_b64 v[57:58], 2, v[57:58]
	v_lshlrev_b64 v[48:49], 2, v[49:50]
	v_mov_b32_e32 v62, v59
	v_mad_u64_u32 v[59:60], null, s2, v19, 0
	v_mov_b32_e32 v16, v66
	v_add_nc_u32_e32 v50, 0x9d8, v41
	v_add_co_u32 v55, s0, v3, v55
	v_add_co_ci_u32_e64 v56, s0, v5, v56, s0
	v_mad_u64_u32 v[66:67], null, s3, v21, v[16:17]
	v_mov_b32_e32 v16, v60
	v_add_co_u32 v57, s0, v3, v57
	v_lshlrev_b64 v[61:62], 2, v[61:62]
	v_add_co_ci_u32_e64 v58, s0, v5, v58, s0
	v_mad_u64_u32 v[67:68], null, s3, v19, v[16:17]
	v_mad_u64_u32 v[68:69], null, s2, v50, 0
	v_add_co_u32 v48, s0, v3, v48
	v_add_nc_u32_e32 v19, 0x6ae, v41
	v_add_co_ci_u32_e64 v49, s0, v5, v49, s0
	v_add_co_u32 v60, s0, v3, v61
	v_mov_b32_e32 v16, v69
	v_add_co_ci_u32_e64 v61, s0, v5, v62, s0
	s_clause 0x7
	global_load_dword v100, v[44:45], off
	global_load_dword v99, v[46:47], off
	;; [unrolled: 1-line block ×8, first 2 shown]
	v_add_nc_u32_e32 v61, 0xa32, v41
	v_mad_u64_u32 v[46:47], null, s3, v50, v[16:17]
	v_mov_b32_e32 v16, v71
	v_mad_u64_u32 v[47:48], null, s2, v19, 0
	v_mov_b32_e32 v60, v67
	v_mad_u64_u32 v[55:56], null, s2, v61, 0
	v_mad_u64_u32 v[49:50], null, s3, v20, v[16:17]
	v_lshlrev_b64 v[44:45], 2, v[65:66]
	v_mov_b32_e32 v16, v48
	v_lshlrev_b64 v[57:58], 2, v[59:60]
	v_mov_b32_e32 v69, v46
	v_add_co_u32 v44, s0, v3, v44
	v_mov_b32_e32 v71, v49
	v_mad_u64_u32 v[48:49], null, s3, v19, v[16:17]
	v_mov_b32_e32 v16, v56
	v_add_co_ci_u32_e64 v45, s0, v5, v45, s0
	v_add_co_u32 v49, s0, v3, v57
	v_add_co_ci_u32_e64 v50, s0, v5, v58, s0
	v_mad_u64_u32 v[58:59], null, s3, v61, v[16:17]
	v_lshlrev_b64 v[56:57], 2, v[68:69]
	v_lshlrev_b64 v[59:60], 2, v[70:71]
	;; [unrolled: 1-line block ×3, first 2 shown]
	v_mov_b32_e32 v48, v22
	v_add_co_u32 v61, s0, v3, v56
	v_mov_b32_e32 v56, v58
	v_add_co_ci_u32_e64 v62, s0, v5, v57, s0
	v_add_co_u32 v57, s0, v3, v59
	v_lshlrev_b64 v[55:56], 2, v[55:56]
	v_add_co_ci_u32_e64 v58, s0, v5, v60, s0
	v_add_co_u32 v46, s0, v3, v46
	v_add_co_ci_u32_e64 v47, s0, v5, v47, s0
	v_add_co_u32 v59, s0, v3, v55
	v_add_co_ci_u32_e64 v60, s0, v5, v56, s0
	s_clause 0x5
	global_load_dword v56, v[44:45], off
	global_load_dword v106, v[49:50], off
	;; [unrolled: 1-line block ×6, first 2 shown]
	v_lshrrev_b32_e32 v58, 16, v52
	v_lshrrev_b32_e32 v57, 16, v51
	v_mov_b32_e32 v50, v20
	v_mov_b32_e32 v49, v21
	v_mov_b32_e32 v47, v25
	v_mov_b32_e32 v46, v28
	v_mov_b32_e32 v45, v29
	v_mov_b32_e32 v44, v32
	v_mov_b32_e32 v3, v35
	v_mov_b32_e32 v5, v38
	s_waitcnt vmcnt(13)
	v_lshrrev_b32_e32 v117, 16, v100
	s_waitcnt vmcnt(12)
	v_lshrrev_b32_e32 v115, 16, v99
	;; [unrolled: 2-line block ×14, first 2 shown]
.LBB0_13:
	s_or_b32 exec_lo, exec_lo, s1
	v_add_f16_e32 v59, v51, v52
	v_add_f16_e32 v60, v52, v6
	;; [unrolled: 1-line block ×3, first 2 shown]
	v_sub_f16_e32 v61, v58, v57
	v_add_f16_e32 v58, v58, v125
	v_fmac_f16_e32 v6, -0.5, v59
	v_add_f16_e32 v59, v8, v9
	v_add_f16_e32 v60, v51, v60
	v_fmac_f16_e32 v125, -0.5, v62
	v_sub_f16_e32 v51, v52, v51
	v_add_f16_e32 v52, v9, v4
	v_add_f16_e32 v126, v57, v58
	v_fmac_f16_e32 v4, -0.5, v59
	v_sub_f16_e32 v57, v124, v123
	v_fmamk_f16 v127, v51, 0xbaee, v125
	v_fmac_f16_e32 v125, 0x3aee, v51
	v_add_f16_e32 v51, v8, v52
	v_add_f16_e32 v52, v15, v7
	v_fmamk_f16 v58, v57, 0x3aee, v4
	v_fmac_f16_e32 v4, 0xbaee, v57
	v_add_f16_e32 v57, v13, v14
	v_fmamk_f16 v62, v61, 0x3aee, v6
	v_fmac_f16_e32 v6, 0xbaee, v61
	v_add_f16_e32 v59, v7, v2
	v_fmac_f16_e32 v2, -0.5, v52
	v_sub_f16_e32 v52, v122, v120
	v_add_f16_e32 v61, v14, v18
	v_fmac_f16_e32 v18, -0.5, v57
	v_sub_f16_e32 v57, v121, v119
	v_add_f16_e32 v135, v123, v124
	v_fmamk_f16 v64, v52, 0x3aee, v2
	v_fmac_f16_e32 v2, 0xbaee, v52
	v_add_f16_e32 v52, v13, v61
	v_add_f16_e32 v61, v11, v12
	v_fmamk_f16 v65, v57, 0x3aee, v18
	v_fmac_f16_e32 v18, 0xbaee, v57
	v_add_f16_e32 v57, v99, v100
	v_add_f16_e32 v124, v124, v101
	v_fmac_f16_e32 v101, -0.5, v135
	v_sub_f16_e32 v8, v9, v8
	v_add_f16_e32 v66, v12, v17
	v_fmac_f16_e32 v17, -0.5, v61
	v_sub_f16_e32 v61, v118, v116
	;; [unrolled: 3-line block ×3, first 2 shown]
	v_add_f16_e32 v9, v123, v124
	v_add_f16_e32 v123, v120, v122
	v_fmamk_f16 v124, v8, 0xbaee, v101
	v_fmac_f16_e32 v101, 0x3aee, v8
	v_add_f16_e32 v8, v119, v121
	v_fmamk_f16 v68, v61, 0x3aee, v17
	v_fmac_f16_e32 v17, 0xbaee, v61
	v_add_f16_e32 v61, v99, v67
	v_add_f16_e32 v67, v91, v92
	v_fmamk_f16 v69, v57, 0x3aee, v10
	v_fmac_f16_e32 v10, 0xbaee, v57
	v_add_f16_e32 v57, v84, v89
	v_add_f16_e32 v59, v15, v59
	;; [unrolled: 1-line block ×3, first 2 shown]
	v_fmac_f16_e32 v97, -0.5, v123
	v_sub_f16_e32 v7, v7, v15
	v_add_f16_e32 v15, v121, v96
	v_fmac_f16_e32 v96, -0.5, v8
	v_sub_f16_e32 v8, v14, v13
	v_add_f16_e32 v70, v92, v53
	v_fmac_f16_e32 v53, -0.5, v67
	v_sub_f16_e32 v67, v114, v112
	v_add_f16_e32 v71, v89, v54
	v_fmac_f16_e32 v54, -0.5, v57
	v_sub_f16_e32 v57, v113, v111
	v_mad_u32_u24 v128, v41, 6, 0
	v_mad_i32_i24 v129, v5, 6, 0
	v_fmamk_f16 v14, v7, 0xbaee, v97
	v_fmac_f16_e32 v97, 0x3aee, v7
	v_add_f16_e32 v7, v119, v15
	v_add_f16_e32 v15, v116, v118
	v_fmamk_f16 v119, v8, 0xbaee, v96
	v_fmac_f16_e32 v96, 0x3aee, v8
	v_add_f16_e32 v8, v115, v117
	v_fmamk_f16 v72, v67, 0x3aee, v53
	v_fmac_f16_e32 v53, 0xbaee, v67
	v_add_f16_e32 v67, v84, v71
	v_add_f16_e32 v71, v105, v106
	v_fmamk_f16 v73, v57, 0x3aee, v54
	v_fmac_f16_e32 v54, 0xbaee, v57
	v_add_f16_e32 v57, v104, v103
	ds_write_b16 v128, v60
	ds_write_b16 v128, v62 offset:2
	ds_write_b16 v128, v6 offset:4
	v_mad_i32_i24 v130, v3, 6, 0
	ds_write_b16 v129, v51
	ds_write_b16 v129, v58 offset:2
	ds_write_b16 v129, v4 offset:4
	v_mad_i32_i24 v51, v44, 6, 0
	v_add_f16_e32 v66, v11, v66
	v_add_f16_e32 v118, v118, v93
	v_fmac_f16_e32 v93, -0.5, v15
	v_sub_f16_e32 v11, v12, v11
	v_add_f16_e32 v12, v117, v88
	v_fmac_f16_e32 v88, -0.5, v8
	v_sub_f16_e32 v8, v100, v99
	;; [unrolled: 3-line block ×3, first 2 shown]
	v_add_f16_e32 v70, v91, v70
	v_add_f16_e32 v75, v103, v55
	v_fmac_f16_e32 v55, -0.5, v57
	v_sub_f16_e32 v57, v109, v107
	ds_write_b16 v130, v59
	ds_write_b16 v130, v64 offset:2
	ds_write_b16 v130, v2 offset:4
	v_mad_i32_i24 v131, v45, 6, 0
	ds_write_b16 v51, v52
	ds_write_b16 v51, v65 offset:2
	ds_write_b16 v51, v18 offset:4
	v_mad_i32_i24 v132, v46, 6, 0
	v_mad_i32_i24 v52, v47, 6, 0
	;; [unrolled: 1-line block ×3, first 2 shown]
	v_fmamk_f16 v99, v11, 0xbaee, v93
	v_fmac_f16_e32 v93, 0x3aee, v11
	v_add_f16_e32 v11, v112, v114
	v_fmamk_f16 v100, v8, 0xbaee, v88
	v_fmac_f16_e32 v88, 0x3aee, v8
	v_add_f16_e32 v8, v111, v113
	v_add_f16_e32 v74, v105, v74
	v_mad_i32_i24 v134, v49, 6, 0
	v_fmamk_f16 v76, v71, 0x3aee, v56
	v_fmac_f16_e32 v56, 0xbaee, v71
	v_add_f16_e32 v71, v104, v75
	v_fmamk_f16 v75, v57, 0x3aee, v55
	v_fmac_f16_e32 v55, 0xbaee, v57
	ds_write_b16 v131, v66
	ds_write_b16 v131, v68 offset:2
	ds_write_b16 v131, v17 offset:4
	ds_write_b16 v132, v61
	ds_write_b16 v132, v69 offset:2
	ds_write_b16 v132, v10 offset:4
	;; [unrolled: 3-line block ×3, first 2 shown]
	v_mad_i32_i24 v53, v50, 6, 0
	ds_write_b16 v133, v67
	ds_write_b16 v133, v73 offset:2
	ds_write_b16 v133, v54 offset:4
	ds_write_b16 v134, v74
	ds_write_b16 v134, v76 offset:2
	ds_write_b16 v134, v56 offset:4
	;; [unrolled: 3-line block ×3, first 2 shown]
	v_lshlrev_b32_e32 v55, 2, v50
	v_lshlrev_b32_e32 v2, 1, v41
	v_add_f16_e32 v114, v114, v80
	v_fmac_f16_e32 v80, -0.5, v11
	v_sub_f16_e32 v11, v92, v91
	v_add_f16_e32 v91, v113, v63
	v_fmac_f16_e32 v63, -0.5, v8
	v_sub_f16_e32 v8, v89, v84
	v_lshlrev_b32_e32 v56, 2, v47
	v_lshlrev_b32_e32 v57, 2, v44
	v_sub_nc_u32_e32 v61, v53, v55
	v_lshlrev_b32_e32 v4, 1, v5
	v_add_nc_u32_e32 v54, 0, v2
	v_lshlrev_b32_e32 v6, 1, v3
	v_fmamk_f16 v89, v11, 0xbaee, v80
	v_fmac_f16_e32 v80, 0x3aee, v11
	v_add_f16_e32 v11, v108, v110
	v_fmamk_f16 v92, v8, 0xbaee, v63
	v_fmac_f16_e32 v63, 0x3aee, v8
	v_add_f16_e32 v8, v107, v109
	s_waitcnt lgkmcnt(0)
	s_barrier
	buffer_gl0_inv
	v_sub_nc_u32_e32 v60, v52, v56
	v_sub_nc_u32_e32 v62, v51, v57
	ds_read_u16 v73, v61
	v_add_nc_u32_e32 v58, 0, v4
	ds_read_u16 v18, v54
	ds_read_u16 v74, v54 offset:720
	ds_read_u16 v72, v54 offset:2340
	v_add_nc_u32_e32 v59, 0, v6
	ds_read_u16 v77, v54 offset:3780
	ds_read_u16 v64, v54 offset:3960
	;; [unrolled: 1-line block ×21, first 2 shown]
	ds_read_u16 v98, v60
	ds_read_u16 v102, v62
	ds_read_u16 v10, v59
	ds_read_u16 v17, v58
	ds_read_u16 v65, v54 offset:5220
	s_waitcnt lgkmcnt(0)
	s_barrier
	buffer_gl0_inv
	ds_write_b16 v128, v126
	ds_write_b16 v128, v127 offset:2
	ds_write_b16 v128, v125 offset:4
	v_add_f16_e32 v110, v110, v19
	v_fmac_f16_e32 v19, -0.5, v11
	v_sub_f16_e32 v11, v106, v105
	v_add_f16_e32 v105, v109, v16
	v_fmac_f16_e32 v16, -0.5, v8
	v_sub_f16_e32 v8, v103, v104
	ds_write_b16 v129, v9
	ds_write_b16 v129, v124 offset:2
	v_and_b32_e32 v9, 0xff, v41
	v_fmamk_f16 v104, v11, 0xbaee, v19
	v_fmac_f16_e32 v19, 0x3aee, v11
	v_fmamk_f16 v106, v8, 0xbaee, v16
	v_fmac_f16_e32 v16, 0x3aee, v8
	v_mul_lo_u16 v8, 0xab, v9
	v_add_f16_e32 v13, v120, v122
	v_add_f16_e32 v15, v116, v118
	ds_write_b16 v129, v101 offset:4
	ds_write_b16 v130, v13
	ds_write_b16 v130, v14 offset:2
	ds_write_b16 v130, v97 offset:4
	v_lshrrev_b16 v11, 9, v8
	ds_write_b16 v51, v7
	ds_write_b16 v51, v119 offset:2
	ds_write_b16 v51, v96 offset:4
	ds_write_b16 v131, v15
	v_and_b32_e32 v8, 0xff, v5
	v_add_f16_e32 v12, v115, v12
	ds_write_b16 v131, v99 offset:2
	ds_write_b16 v131, v93 offset:4
	ds_write_b16 v132, v12
	ds_write_b16 v132, v100 offset:2
	v_mul_lo_u16 v7, v11, 3
	v_mul_lo_u16 v13, 0xab, v8
	v_add_f16_e32 v91, v111, v91
	v_add_f16_e32 v103, v108, v110
	;; [unrolled: 1-line block ×3, first 2 shown]
	v_sub_nc_u16 v12, v41, v7
	v_mov_b32_e32 v7, 9
	v_lshrrev_b16 v13, 9, v13
	ds_write_b16 v132, v88 offset:4
	ds_write_b16 v52, v84
	ds_write_b16 v52, v89 offset:2
	ds_write_b16 v52, v80 offset:4
	ds_write_b16 v133, v91
	ds_write_b16 v133, v92 offset:2
	ds_write_b16 v133, v63 offset:4
	ds_write_b16 v134, v103
	v_mul_u32_u24_sdwa v14, v12, v7 dst_sel:DWORD dst_unused:UNUSED_PAD src0_sel:BYTE_0 src1_sel:DWORD
	ds_write_b16 v134, v104 offset:2
	ds_write_b16 v134, v19 offset:4
	v_add_f16_e32 v105, v107, v105
	ds_write_b16 v53, v105
	ds_write_b16 v53, v106 offset:2
	v_lshlrev_b32_e32 v19, 2, v14
	v_mul_lo_u16 v14, v13, 3
	ds_write_b16 v53, v16 offset:4
	s_waitcnt lgkmcnt(0)
	s_barrier
	buffer_gl0_inv
	v_sub_nc_u16 v14, v5, v14
	s_clause 0x1
	global_load_dwordx4 v[106:109], v19, s[8:9]
	global_load_dwordx4 v[111:114], v19, s[8:9] offset:16
	v_mul_lo_u16 v9, 0x89, v9
	v_mul_lo_u16 v8, 0x89, v8
	v_mul_u32_u24_sdwa v15, v14, v7 dst_sel:DWORD dst_unused:UNUSED_PAD src0_sel:BYTE_0 src1_sel:DWORD
	v_lshrrev_b16 v9, 12, v9
	v_lshrrev_b16 v8, 12, v8
	v_lshlrev_b32_e32 v63, 2, v15
	v_mov_b32_e32 v15, 0xaaab
	s_clause 0x1
	global_load_dwordx4 v[115:118], v63, s[8:9]
	global_load_dwordx4 v[119:122], v63, s[8:9] offset:16
	v_mul_u32_u24_sdwa v15, v3, v15 dst_sel:DWORD dst_unused:UNUSED_PAD src0_sel:WORD_0 src1_sel:DWORD
	v_lshrrev_b32_e32 v15, 17, v15
	v_mul_lo_u16 v16, v15, 3
	v_sub_nc_u16 v16, v3, v16
	v_mul_u32_u24_sdwa v80, v16, v7 dst_sel:DWORD dst_unused:UNUSED_PAD src0_sel:WORD_0 src1_sel:DWORD
	v_lshlrev_b32_e32 v80, 2, v80
	s_clause 0x4
	global_load_dwordx4 v[123:126], v80, s[8:9]
	global_load_dwordx4 v[127:130], v80, s[8:9] offset:16
	global_load_dword v97, v19, s[8:9] offset:32
	global_load_dword v131, v63, s[8:9] offset:32
	;; [unrolled: 1-line block ×3, first 2 shown]
	ds_read_u16 v63, v62
	ds_read_u16 v84, v60
	;; [unrolled: 1-line block ×3, first 2 shown]
	ds_read_u16 v93, v54 offset:2160
	ds_read_u16 v96, v54 offset:2700
	;; [unrolled: 1-line block ×23, first 2 shown]
	ds_read_u16 v89, v54
	ds_read_u16 v19, v59
	s_waitcnt vmcnt(8)
	v_mul_f16_sdwa v92, v102, v106 dst_sel:DWORD dst_unused:UNUSED_PAD src0_sel:DWORD src1_sel:WORD_1
	s_waitcnt lgkmcnt(27)
	v_mul_f16_sdwa v99, v63, v106 dst_sel:DWORD dst_unused:UNUSED_PAD src0_sel:DWORD src1_sel:WORD_1
	v_mul_f16_sdwa v155, v81, v109 dst_sel:DWORD dst_unused:UNUSED_PAD src0_sel:DWORD src1_sel:WORD_1
	s_waitcnt lgkmcnt(26)
	v_mul_f16_sdwa v152, v84, v107 dst_sel:DWORD dst_unused:UNUSED_PAD src0_sel:DWORD src1_sel:WORD_1
	v_mul_f16_sdwa v105, v98, v107 dst_sel:DWORD dst_unused:UNUSED_PAD src0_sel:DWORD src1_sel:WORD_1
	v_fmac_f16_e32 v92, v63, v106
	s_waitcnt lgkmcnt(24)
	v_mul_f16_sdwa v154, v93, v109 dst_sel:DWORD dst_unused:UNUSED_PAD src0_sel:DWORD src1_sel:WORD_1
	v_fmac_f16_e32 v155, v93, v109
	v_mul_f16_sdwa v153, v91, v108 dst_sel:DWORD dst_unused:UNUSED_PAD src0_sel:DWORD src1_sel:WORD_1
	v_mul_f16_sdwa v100, v73, v108 dst_sel:DWORD dst_unused:UNUSED_PAD src0_sel:DWORD src1_sel:WORD_1
	s_waitcnt vmcnt(7) lgkmcnt(23)
	v_mul_f16_sdwa v156, v96, v111 dst_sel:DWORD dst_unused:UNUSED_PAD src0_sel:DWORD src1_sel:WORD_1
	v_mul_f16_sdwa v103, v94, v111 dst_sel:DWORD dst_unused:UNUSED_PAD src0_sel:DWORD src1_sel:WORD_1
	;; [unrolled: 1-line block ×3, first 2 shown]
	s_waitcnt lgkmcnt(11)
	v_mul_f16_sdwa v160, v142, v114 dst_sel:DWORD dst_unused:UNUSED_PAD src0_sel:DWORD src1_sel:WORD_1
	s_waitcnt vmcnt(6) lgkmcnt(5)
	v_mul_f16_sdwa v63, v148, v117 dst_sel:DWORD dst_unused:UNUSED_PAD src0_sel:DWORD src1_sel:WORD_1
	v_mul_f16_sdwa v162, v144, v115 dst_sel:DWORD dst_unused:UNUSED_PAD src0_sel:DWORD src1_sel:WORD_1
	;; [unrolled: 1-line block ×4, first 2 shown]
	v_fma_f16 v99, v102, v106, -v99
	v_fma_f16 v93, v85, v117, -v63
	v_mul_f16_sdwa v63, v146, v118 dst_sel:DWORD dst_unused:UNUSED_PAD src0_sel:DWORD src1_sel:WORD_1
	s_waitcnt lgkmcnt(3)
	v_mul_f16_sdwa v163, v150, v116 dst_sel:DWORD dst_unused:UNUSED_PAD src0_sel:DWORD src1_sel:WORD_1
	v_mul_f16_sdwa v110, v87, v116 dst_sel:DWORD dst_unused:UNUSED_PAD src0_sel:DWORD src1_sel:WORD_1
	v_fma_f16 v106, v98, v107, -v152
	v_fmac_f16_e32 v105, v84, v107
	v_fma_f16 v107, v81, v109, -v154
	v_fma_f16 v81, v74, v115, -v162
	v_fmac_f16_e32 v80, v144, v115
	s_waitcnt vmcnt(5)
	v_mul_f16_sdwa v74, v136, v120 dst_sel:DWORD dst_unused:UNUSED_PAD src0_sel:DWORD src1_sel:WORD_1
	v_fma_f16 v115, v72, v118, -v63
	v_mul_f16_sdwa v63, v134, v121 dst_sel:DWORD dst_unused:UNUSED_PAD src0_sel:DWORD src1_sel:WORD_1
	v_mul_f16_sdwa v158, v90, v112 dst_sel:DWORD dst_unused:UNUSED_PAD src0_sel:DWORD src1_sel:WORD_1
	;; [unrolled: 1-line block ×4, first 2 shown]
	v_fma_f16 v98, v73, v108, -v153
	v_fmac_f16_e32 v100, v91, v108
	v_fma_f16 v102, v94, v111, -v156
	v_fmac_f16_e32 v103, v96, v111
	v_fmac_f16_e32 v101, v133, v113
	v_fma_f16 v133, v95, v114, -v160
	v_fmac_f16_e32 v161, v142, v114
	v_fma_f16 v114, v87, v116, -v163
	v_fmac_f16_e32 v110, v150, v116
	v_mul_f16_sdwa v111, v72, v118 dst_sel:DWORD dst_unused:UNUSED_PAD src0_sel:DWORD src1_sel:WORD_1
	v_mul_f16_sdwa v73, v132, v119 dst_sel:DWORD dst_unused:UNUSED_PAD src0_sel:DWORD src1_sel:WORD_1
	v_fma_f16 v116, v75, v120, -v74
	v_mul_f16_sdwa v91, v64, v121 dst_sel:DWORD dst_unused:UNUSED_PAD src0_sel:DWORD src1_sel:WORD_1
	v_mul_f16_sdwa v72, v138, v122 dst_sel:DWORD dst_unused:UNUSED_PAD src0_sel:DWORD src1_sel:WORD_1
	v_fma_f16 v96, v64, v121, -v63
	s_waitcnt vmcnt(4) lgkmcnt(2)
	v_mul_f16_sdwa v64, v151, v123 dst_sel:DWORD dst_unused:UNUSED_PAD src0_sel:DWORD src1_sel:WORD_1
	v_mul_f16_sdwa v74, v147, v125 dst_sel:DWORD dst_unused:UNUSED_PAD src0_sel:DWORD src1_sel:WORD_1
	ds_read_u16 v85, v54 offset:5220
	v_mul_f16_sdwa v157, v104, v112 dst_sel:DWORD dst_unused:UNUSED_PAD src0_sel:DWORD src1_sel:WORD_1
	v_fmac_f16_e32 v158, v104, v112
	v_fma_f16 v104, v77, v113, -v159
	v_fmac_f16_e32 v84, v148, v117
	v_fma_f16 v94, v86, v119, -v73
	v_mul_f16_sdwa v113, v78, v122 dst_sel:DWORD dst_unused:UNUSED_PAD src0_sel:DWORD src1_sel:WORD_1
	v_fma_f16 v117, v78, v122, -v72
	v_mul_f16_sdwa v63, v69, v123 dst_sel:DWORD dst_unused:UNUSED_PAD src0_sel:DWORD src1_sel:WORD_1
	v_mul_f16_sdwa v73, v149, v124 dst_sel:DWORD dst_unused:UNUSED_PAD src0_sel:DWORD src1_sel:WORD_1
	v_fma_f16 v64, v69, v123, -v64
	v_fma_f16 v69, v66, v125, -v74
	v_mul_f16_sdwa v74, v145, v126 dst_sel:DWORD dst_unused:UNUSED_PAD src0_sel:DWORD src1_sel:WORD_1
	s_waitcnt vmcnt(3)
	v_mul_f16_sdwa v78, v137, v127 dst_sel:DWORD dst_unused:UNUSED_PAD src0_sel:DWORD src1_sel:WORD_1
	v_fma_f16 v152, v90, v112, -v157
	v_mul_f16_sdwa v90, v86, v119 dst_sel:DWORD dst_unused:UNUSED_PAD src0_sel:DWORD src1_sel:WORD_1
	v_mul_f16_sdwa v112, v75, v120 dst_sel:DWORD dst_unused:UNUSED_PAD src0_sel:DWORD src1_sel:WORD_1
	v_fma_f16 v75, v67, v124, -v73
	v_mul_f16_sdwa v73, v70, v126 dst_sel:DWORD dst_unused:UNUSED_PAD src0_sel:DWORD src1_sel:WORD_1
	v_fma_f16 v77, v70, v126, -v74
	v_fma_f16 v70, v68, v127, -v78
	v_mul_f16_sdwa v78, v135, v128 dst_sel:DWORD dst_unused:UNUSED_PAD src0_sel:DWORD src1_sel:WORD_1
	v_mul_f16_sdwa v86, v143, v129 dst_sel:DWORD dst_unused:UNUSED_PAD src0_sel:DWORD src1_sel:WORD_1
	;; [unrolled: 1-line block ×3, first 2 shown]
	s_waitcnt vmcnt(1)
	v_mul_f16_sdwa v108, v140, v131 dst_sel:DWORD dst_unused:UNUSED_PAD src0_sel:DWORD src1_sel:WORD_1
	v_mul_f16_sdwa v72, v67, v124 dst_sel:DWORD dst_unused:UNUSED_PAD src0_sel:DWORD src1_sel:WORD_1
	;; [unrolled: 1-line block ×5, first 2 shown]
	v_fma_f16 v78, v71, v128, -v78
	v_fma_f16 v71, v79, v129, -v86
	;; [unrolled: 1-line block ×3, first 2 shown]
	v_mul_f16_sdwa v86, v141, v97 dst_sel:DWORD dst_unused:UNUSED_PAD src0_sel:DWORD src1_sel:WORD_1
	v_mul_f16_sdwa v87, v83, v97 dst_sel:DWORD dst_unused:UNUSED_PAD src0_sel:DWORD src1_sel:WORD_1
	;; [unrolled: 1-line block ×3, first 2 shown]
	v_fma_f16 v108, v82, v131, -v108
	v_add_f16_e32 v82, v107, v152
	v_fmac_f16_e32 v111, v146, v118
	ds_read_u16 v118, v58
	v_fmac_f16_e32 v112, v136, v120
	v_fma_f16 v83, v83, v97, -v86
	v_fmac_f16_e32 v87, v141, v97
	s_waitcnt vmcnt(0) lgkmcnt(1)
	v_mul_f16_sdwa v86, v85, v88 dst_sel:DWORD dst_unused:UNUSED_PAD src0_sel:DWORD src1_sel:WORD_1
	v_mul_f16_sdwa v97, v65, v88 dst_sel:DWORD dst_unused:UNUSED_PAD src0_sel:DWORD src1_sel:WORD_1
	v_fma_f16 v82, -0.5, v82, v18
	v_sub_f16_e32 v120, v105, v161
	v_fmac_f16_e32 v90, v132, v119
	v_fmac_f16_e32 v91, v134, v121
	v_sub_f16_e32 v119, v106, v107
	v_sub_f16_e32 v121, v133, v152
	v_fma_f16 v109, v65, v88, -v86
	v_fmac_f16_e32 v97, v85, v88
	v_add_f16_e32 v65, v106, v133
	v_fmamk_f16 v85, v120, 0x3b9c, v82
	v_sub_f16_e32 v86, v155, v158
	v_fmac_f16_e32 v82, 0xbb9c, v120
	v_add_f16_e32 v88, v119, v121
	v_add_f16_e32 v119, v18, v106
	v_fmac_f16_e32 v18, -0.5, v65
	v_fmac_f16_e32 v85, 0x38b4, v86
	v_fmac_f16_e32 v82, 0xb8b4, v86
	;; [unrolled: 1-line block ×3, first 2 shown]
	v_sub_f16_e32 v65, v107, v106
	v_sub_f16_e32 v121, v152, v133
	v_fmamk_f16 v122, v86, 0xbb9c, v18
	v_fmac_f16_e32 v18, 0x3b9c, v86
	v_add_f16_e32 v119, v119, v107
	v_fmac_f16_e32 v85, 0x34f2, v88
	v_fmac_f16_e32 v82, 0x34f2, v88
	v_add_f16_e32 v88, v155, v158
	v_add_f16_e32 v65, v65, v121
	v_fmac_f16_e32 v122, 0x38b4, v120
	v_fmac_f16_e32 v18, 0xb8b4, v120
	v_add_f16_e32 v86, v119, v152
	v_sub_f16_e32 v106, v106, v133
	v_sub_f16_e32 v119, v105, v155
	;; [unrolled: 1-line block ×3, first 2 shown]
	v_fma_f16 v121, -0.5, v88, v89
	v_sub_f16_e32 v88, v107, v152
	v_add_f16_e32 v107, v105, v161
	v_fmac_f16_e32 v122, 0x34f2, v65
	v_add_f16_e32 v119, v119, v120
	v_fmamk_f16 v120, v106, 0xbb9c, v121
	v_fmac_f16_e32 v121, 0x3b9c, v106
	v_fmac_f16_e32 v18, 0x34f2, v65
	v_add_f16_e32 v65, v86, v133
	v_add_f16_e32 v86, v89, v105
	v_fmac_f16_e32 v89, -0.5, v107
	v_sub_f16_e32 v105, v155, v105
	v_fmac_f16_e32 v120, 0xb8b4, v88
	v_fmac_f16_e32 v121, 0x38b4, v88
	v_sub_f16_e32 v107, v158, v161
	v_fmac_f16_e32 v63, v151, v123
	v_fmamk_f16 v123, v88, 0x3b9c, v89
	v_fmac_f16_e32 v89, 0xbb9c, v88
	v_fmac_f16_e32 v120, 0x34f2, v119
	;; [unrolled: 1-line block ×3, first 2 shown]
	v_add_f16_e32 v105, v105, v107
	v_sub_f16_e32 v107, v98, v102
	v_sub_f16_e32 v119, v83, v104
	v_add_f16_e32 v88, v102, v104
	v_fmac_f16_e32 v123, 0xb8b4, v106
	v_fmac_f16_e32 v89, 0x38b4, v106
	v_add_f16_e32 v106, v98, v83
	v_add_f16_e32 v107, v107, v119
	;; [unrolled: 1-line block ×3, first 2 shown]
	v_fmac_f16_e32 v73, v145, v126
	v_fma_f16 v88, -0.5, v88, v99
	v_sub_f16_e32 v126, v103, v101
	v_fmac_f16_e32 v99, -0.5, v106
	v_add_f16_e32 v119, v119, v102
	v_fmac_f16_e32 v72, v149, v124
	v_mul_f16_sdwa v66, v66, v125 dst_sel:DWORD dst_unused:UNUSED_PAD src0_sel:DWORD src1_sel:WORD_1
	v_fmac_f16_e32 v67, v137, v127
	v_fmac_f16_e32 v74, v135, v128
	v_sub_f16_e32 v124, v100, v87
	v_sub_f16_e32 v106, v102, v98
	;; [unrolled: 1-line block ×3, first 2 shown]
	v_fmamk_f16 v128, v126, 0xbb9c, v99
	v_fmac_f16_e32 v99, 0x3b9c, v126
	v_fmac_f16_e32 v123, 0x34f2, v105
	v_fmac_f16_e32 v89, 0x34f2, v105
	v_add_f16_e32 v105, v119, v104
	v_fmac_f16_e32 v66, v147, v125
	v_fmamk_f16 v125, v124, 0x3b9c, v88
	v_fmac_f16_e32 v88, 0xbb9c, v124
	v_add_f16_e32 v106, v106, v127
	v_fmac_f16_e32 v128, 0x38b4, v124
	v_fmac_f16_e32 v99, 0xb8b4, v124
	v_add_f16_e32 v105, v105, v83
	v_sub_f16_e32 v83, v98, v83
	v_add_f16_e32 v98, v103, v101
	v_sub_f16_e32 v102, v102, v104
	v_add_f16_e32 v104, v100, v87
	v_fmac_f16_e32 v125, 0x38b4, v126
	v_fmac_f16_e32 v88, 0xb8b4, v126
	;; [unrolled: 1-line block ×4, first 2 shown]
	v_add_f16_e32 v106, v92, v100
	v_fma_f16 v98, -0.5, v98, v92
	v_fmac_f16_e32 v92, -0.5, v104
	v_fmac_f16_e32 v125, 0x34f2, v107
	v_fmac_f16_e32 v88, 0x34f2, v107
	v_sub_f16_e32 v107, v100, v103
	v_sub_f16_e32 v119, v87, v101
	v_add_f16_e32 v104, v106, v103
	v_sub_f16_e32 v100, v103, v100
	v_fmamk_f16 v103, v83, 0xbb9c, v98
	v_sub_f16_e32 v106, v101, v87
	v_fmamk_f16 v124, v102, 0x3b9c, v92
	v_add_f16_e32 v107, v107, v119
	v_fmac_f16_e32 v98, 0x3b9c, v83
	v_fmac_f16_e32 v103, 0xb8b4, v102
	v_add_f16_e32 v100, v100, v106
	v_fmac_f16_e32 v124, 0xb8b4, v83
	v_fmac_f16_e32 v92, 0xbb9c, v102
	v_add_f16_e32 v101, v104, v101
	v_fmac_f16_e32 v103, 0x34f2, v107
	v_fmac_f16_e32 v98, 0x38b4, v102
	v_fmac_f16_e32 v124, 0x34f2, v100
	v_fmac_f16_e32 v92, 0x38b4, v83
	v_add_f16_e32 v86, v86, v155
	v_add_f16_e32 v87, v101, v87
	v_mul_f16_e32 v83, 0x38b4, v103
	v_mul_f16_e32 v119, 0xb8b4, v125
	;; [unrolled: 1-line block ×3, first 2 shown]
	v_fmac_f16_e32 v98, 0x34f2, v107
	v_fmac_f16_e32 v92, 0x34f2, v100
	v_mul_f16_e32 v100, 0x34f2, v99
	v_add_f16_e32 v86, v86, v158
	v_fmac_f16_e32 v83, 0x3a79, v125
	v_fmac_f16_e32 v119, 0x3a79, v103
	;; [unrolled: 1-line block ×3, first 2 shown]
	v_mul_f16_e32 v125, 0xbb9c, v128
	v_mul_f16_e32 v102, 0x34f2, v92
	;; [unrolled: 1-line block ×4, first 2 shown]
	v_fma_f16 v92, v92, 0x3b9c, -v100
	v_add_f16_e32 v86, v86, v161
	v_fmac_f16_e32 v125, 0x34f2, v124
	v_fma_f16 v124, v99, 0xbb9c, -v102
	v_fma_f16 v102, v98, 0x38b4, -v103
	;; [unrolled: 1-line block ×3, first 2 shown]
	v_add_f16_e32 v103, v122, v101
	v_sub_f16_e32 v100, v122, v101
	v_add_f16_e32 v104, v18, v92
	v_sub_f16_e32 v101, v18, v92
	v_add_f16_e32 v18, v115, v116
	v_add_f16_e32 v106, v65, v105
	v_sub_f16_e32 v98, v65, v105
	v_add_f16_e32 v107, v85, v83
	v_sub_f16_e32 v99, v85, v83
	;; [unrolled: 2-line block ×5, first 2 shown]
	v_sub_f16_e32 v92, v114, v115
	v_sub_f16_e32 v119, v117, v116
	v_fma_f16 v120, -0.5, v18, v17
	v_sub_f16_e32 v18, v110, v113
	v_add_f16_e32 v122, v114, v117
	v_add_f16_e32 v87, v123, v125
	v_sub_f16_e32 v83, v123, v125
	v_add_f16_e32 v88, v89, v124
	v_sub_f16_e32 v89, v89, v124
	v_add_f16_e32 v119, v92, v119
	v_add_f16_e32 v92, v17, v114
	v_fmamk_f16 v123, v18, 0x3b9c, v120
	v_sub_f16_e32 v124, v111, v112
	v_fmac_f16_e32 v17, -0.5, v122
	v_fmac_f16_e32 v120, 0xbb9c, v18
	v_sub_f16_e32 v122, v115, v114
	v_sub_f16_e32 v125, v116, v117
	v_fmac_f16_e32 v123, 0x38b4, v124
	v_fmamk_f16 v127, v124, 0xbb9c, v17
	v_fmac_f16_e32 v17, 0x3b9c, v124
	v_fmac_f16_e32 v120, 0xb8b4, v124
	v_add_f16_e32 v124, v92, v115
	v_add_f16_e32 v92, v121, v126
	v_fmac_f16_e32 v127, 0x38b4, v18
	v_fmac_f16_e32 v17, 0xb8b4, v18
	v_sub_f16_e32 v18, v121, v126
	v_add_f16_e32 v121, v124, v116
	v_add_f16_e32 v122, v122, v125
	v_fmac_f16_e32 v123, 0x34f2, v119
	v_fmac_f16_e32 v120, 0x34f2, v119
	v_sub_f16_e32 v114, v114, v117
	v_add_f16_e32 v119, v121, v117
	s_waitcnt lgkmcnt(0)
	v_add_f16_e32 v121, v118, v110
	v_fmac_f16_e32 v127, 0x34f2, v122
	v_fmac_f16_e32 v17, 0x34f2, v122
	v_add_f16_e32 v122, v111, v112
	v_sub_f16_e32 v117, v110, v111
	v_add_f16_e32 v121, v121, v111
	v_sub_f16_e32 v124, v113, v112
	v_sub_f16_e32 v115, v115, v116
	v_fma_f16 v122, -0.5, v122, v118
	v_add_f16_e32 v116, v110, v113
	v_add_f16_e32 v121, v121, v112
	v_sub_f16_e32 v110, v111, v110
	v_sub_f16_e32 v112, v112, v113
	v_add_f16_e32 v117, v117, v124
	v_fmamk_f16 v124, v114, 0xbb9c, v122
	v_fmac_f16_e32 v122, 0x3b9c, v114
	v_fmac_f16_e32 v118, -0.5, v116
	v_add_f16_e32 v110, v110, v112
	v_sub_f16_e32 v112, v93, v94
	v_sub_f16_e32 v116, v108, v96
	v_fmac_f16_e32 v95, v140, v131
	v_add_f16_e32 v111, v121, v113
	v_fmac_f16_e32 v124, 0xb8b4, v115
	v_fmac_f16_e32 v122, 0x38b4, v115
	v_fmamk_f16 v113, v115, 0x3b9c, v118
	v_fmac_f16_e32 v118, 0xbb9c, v115
	v_add_f16_e32 v115, v94, v96
	v_add_f16_e32 v112, v112, v116
	;; [unrolled: 1-line block ×3, first 2 shown]
	v_fmac_f16_e32 v124, 0x34f2, v117
	v_fmac_f16_e32 v122, 0x34f2, v117
	;; [unrolled: 1-line block ×3, first 2 shown]
	v_fma_f16 v115, -0.5, v115, v81
	v_sub_f16_e32 v117, v84, v95
	v_fmac_f16_e32 v118, 0x38b4, v114
	v_add_f16_e32 v114, v93, v108
	v_add_f16_e32 v116, v116, v94
	v_sub_f16_e32 v125, v90, v91
	v_fmamk_f16 v121, v117, 0x3b9c, v115
	v_fmac_f16_e32 v115, 0xbb9c, v117
	v_fmac_f16_e32 v81, -0.5, v114
	v_fmac_f16_e32 v113, 0x34f2, v110
	v_fmac_f16_e32 v118, 0x34f2, v110
	v_add_f16_e32 v110, v116, v96
	v_sub_f16_e32 v114, v94, v93
	v_sub_f16_e32 v126, v96, v108
	v_fmac_f16_e32 v121, 0x38b4, v125
	v_fmamk_f16 v128, v125, 0xbb9c, v81
	v_fmac_f16_e32 v81, 0x3b9c, v125
	v_fmac_f16_e32 v115, 0xb8b4, v125
	v_add_f16_e32 v110, v110, v108
	v_sub_f16_e32 v93, v93, v108
	v_add_f16_e32 v108, v90, v91
	v_sub_f16_e32 v94, v94, v96
	v_add_f16_e32 v96, v84, v95
	v_add_f16_e32 v114, v114, v126
	v_fmac_f16_e32 v128, 0x38b4, v117
	v_fmac_f16_e32 v81, 0xb8b4, v117
	;; [unrolled: 1-line block ×4, first 2 shown]
	v_add_f16_e32 v112, v80, v84
	v_fma_f16 v108, -0.5, v108, v80
	v_fmac_f16_e32 v80, -0.5, v96
	v_fmac_f16_e32 v128, 0x34f2, v114
	v_fmac_f16_e32 v81, 0x34f2, v114
	v_sub_f16_e32 v114, v84, v90
	v_sub_f16_e32 v116, v95, v91
	v_add_f16_e32 v96, v112, v90
	v_sub_f16_e32 v84, v90, v84
	v_fmamk_f16 v90, v93, 0xbb9c, v108
	v_sub_f16_e32 v112, v91, v95
	v_fmamk_f16 v117, v94, 0x3b9c, v80
	v_fmac_f16_e32 v80, 0xbb9c, v94
	v_add_f16_e32 v114, v114, v116
	v_fmac_f16_e32 v90, 0xb8b4, v94
	v_add_f16_e32 v84, v84, v112
	v_fmac_f16_e32 v108, 0x3b9c, v93
	v_fmac_f16_e32 v80, 0x38b4, v93
	v_fmac_f16_e32 v117, 0xb8b4, v93
	v_fmac_f16_e32 v90, 0x34f2, v114
	v_add_f16_e32 v91, v96, v91
	v_fmac_f16_e32 v108, 0x38b4, v94
	v_mul_f16_e32 v94, 0xb8b4, v121
	v_fmac_f16_e32 v80, 0x34f2, v84
	v_fmac_f16_e32 v117, 0x34f2, v84
	v_mul_f16_e32 v93, 0x38b4, v90
	v_fmac_f16_e32 v108, 0x34f2, v114
	v_fmac_f16_e32 v94, 0x3a79, v90
	v_mul_f16_e32 v112, 0xbb9c, v128
	v_mul_f16_e32 v84, 0x34f2, v81
	;; [unrolled: 1-line block ×4, first 2 shown]
	v_mul_f16_sdwa v76, v76, v130 dst_sel:DWORD dst_unused:UNUSED_PAD src0_sel:DWORD src1_sel:WORD_1
	v_add_f16_e32 v91, v91, v95
	v_fmac_f16_e32 v93, 0x3a79, v121
	v_mul_f16_e32 v114, 0x3a79, v108
	v_fmac_f16_e32 v112, 0x34f2, v117
	v_fma_f16 v80, v80, 0x3b9c, -v84
	v_fma_f16 v81, v81, 0xbb9c, -v90
	;; [unrolled: 1-line block ×3, first 2 shown]
	v_fmac_f16_e32 v76, v139, v130
	v_mul_f16_e32 v95, 0x3b9c, v117
	v_fma_f16 v114, v115, 0xb8b4, -v114
	v_add_f16_e32 v115, v119, v110
	v_sub_f16_e32 v116, v119, v110
	v_add_f16_e32 v117, v123, v93
	v_sub_f16_e32 v119, v123, v93
	;; [unrolled: 2-line block ×6, first 2 shown]
	v_add_f16_e32 v96, v113, v112
	v_add_f16_e32 v91, v77, v78
	v_sub_f16_e32 v108, v113, v112
	v_add_f16_e32 v110, v118, v81
	v_sub_f16_e32 v94, v75, v77
	v_sub_f16_e32 v112, v79, v78
	;; [unrolled: 1-line block ×3, first 2 shown]
	v_add_f16_e32 v81, v75, v79
	v_fmac_f16_e32 v95, 0x34f2, v128
	v_fma_f16 v91, -0.5, v91, v10
	v_sub_f16_e32 v113, v72, v76
	v_add_f16_e32 v94, v94, v112
	v_add_f16_e32 v112, v10, v75
	v_sub_f16_e32 v124, v73, v74
	v_fmac_f16_e32 v10, -0.5, v81
	v_add_f16_e32 v121, v127, v95
	v_sub_f16_e32 v95, v127, v95
	v_fmamk_f16 v118, v113, 0x3b9c, v91
	v_fmac_f16_e32 v91, 0xbb9c, v113
	v_sub_f16_e32 v81, v77, v75
	v_sub_f16_e32 v126, v78, v79
	v_fmamk_f16 v127, v124, 0xbb9c, v10
	v_fmac_f16_e32 v10, 0x3b9c, v124
	v_add_f16_e32 v112, v112, v77
	v_fmac_f16_e32 v118, 0x38b4, v124
	v_fmac_f16_e32 v91, 0xb8b4, v124
	v_add_f16_e32 v81, v81, v126
	v_fmac_f16_e32 v127, 0x38b4, v113
	;; [unrolled: 3-line block ×3, first 2 shown]
	v_fmac_f16_e32 v91, 0x34f2, v94
	v_fmac_f16_e32 v127, 0x34f2, v81
	;; [unrolled: 1-line block ×3, first 2 shown]
	v_add_f16_e32 v81, v112, v79
	v_add_f16_e32 v94, v19, v72
	;; [unrolled: 1-line block ×4, first 2 shown]
	v_sub_f16_e32 v114, v122, v114
	v_sub_f16_e32 v75, v75, v79
	;; [unrolled: 1-line block ×4, first 2 shown]
	v_add_f16_e32 v94, v94, v73
	v_fma_f16 v112, -0.5, v112, v19
	v_sub_f16_e32 v77, v77, v78
	v_add_f16_e32 v78, v72, v76
	v_add_f16_e32 v79, v79, v122
	;; [unrolled: 1-line block ×3, first 2 shown]
	v_fmamk_f16 v122, v75, 0xbb9c, v112
	v_fmac_f16_e32 v112, 0x3b9c, v75
	v_fmac_f16_e32 v19, -0.5, v78
	v_sub_f16_e32 v72, v73, v72
	v_add_f16_e32 v73, v94, v76
	v_fmac_f16_e32 v122, 0xb8b4, v77
	v_fmac_f16_e32 v112, 0x38b4, v77
	v_sub_f16_e32 v74, v74, v76
	v_fmamk_f16 v76, v77, 0x3b9c, v19
	v_fmac_f16_e32 v19, 0xbb9c, v77
	v_add_f16_e32 v77, v70, v71
	v_fmac_f16_e32 v68, v143, v129
	v_fmac_f16_e32 v122, 0x34f2, v79
	v_fmac_f16_e32 v112, 0x34f2, v79
	v_add_f16_e32 v72, v72, v74
	v_fmac_f16_e32 v76, 0xb8b4, v75
	v_sub_f16_e32 v74, v69, v70
	v_sub_f16_e32 v78, v109, v71
	v_fma_f16 v77, -0.5, v77, v64
	v_sub_f16_e32 v79, v66, v97
	v_fmac_f16_e32 v19, 0x38b4, v75
	v_add_f16_e32 v75, v69, v109
	v_add_f16_e32 v74, v74, v78
	v_add_f16_e32 v78, v64, v69
	v_fmamk_f16 v94, v79, 0x3b9c, v77
	v_sub_f16_e32 v124, v67, v68
	v_fmac_f16_e32 v64, -0.5, v75
	v_fmac_f16_e32 v77, 0xbb9c, v79
	v_sub_f16_e32 v75, v70, v69
	v_sub_f16_e32 v126, v71, v109
	v_fmac_f16_e32 v94, 0x38b4, v124
	v_fmamk_f16 v128, v124, 0xbb9c, v64
	v_fmac_f16_e32 v64, 0x3b9c, v124
	v_fmac_f16_e32 v77, 0xb8b4, v124
	v_add_f16_e32 v75, v75, v126
	v_add_f16_e32 v78, v78, v70
	v_fmac_f16_e32 v128, 0x38b4, v79
	v_fmac_f16_e32 v64, 0xb8b4, v79
	;; [unrolled: 1-line block ×4, first 2 shown]
	v_add_f16_e32 v74, v67, v68
	v_fmac_f16_e32 v76, 0x34f2, v72
	v_fmac_f16_e32 v19, 0x34f2, v72
	v_add_f16_e32 v72, v78, v71
	v_fmac_f16_e32 v128, 0x34f2, v75
	v_fmac_f16_e32 v64, 0x34f2, v75
	v_sub_f16_e32 v69, v69, v109
	v_sub_f16_e32 v70, v70, v71
	v_add_f16_e32 v71, v66, v97
	v_add_f16_e32 v75, v63, v66
	v_fma_f16 v74, -0.5, v74, v63
	v_sub_f16_e32 v78, v66, v67
	v_sub_f16_e32 v79, v97, v68
	v_fmac_f16_e32 v63, -0.5, v71
	v_add_f16_e32 v71, v75, v67
	v_sub_f16_e32 v66, v67, v66
	v_fmamk_f16 v67, v69, 0xbb9c, v74
	v_add_f16_e32 v72, v72, v109
	v_sub_f16_e32 v75, v68, v97
	v_fmamk_f16 v109, v70, 0x3b9c, v63
	v_add_f16_e32 v78, v78, v79
	v_fmac_f16_e32 v67, 0xb8b4, v70
	v_fmac_f16_e32 v74, 0x3b9c, v69
	;; [unrolled: 1-line block ×3, first 2 shown]
	v_add_f16_e32 v66, v66, v75
	v_fmac_f16_e32 v109, 0xb8b4, v69
	v_fmac_f16_e32 v67, 0x34f2, v78
	;; [unrolled: 1-line block ×4, first 2 shown]
	v_mul_f16_e32 v70, 0xb8b4, v94
	v_fmac_f16_e32 v109, 0x34f2, v66
	v_mul_f16_e32 v69, 0x38b4, v67
	v_fmac_f16_e32 v74, 0x34f2, v78
	v_fmac_f16_e32 v63, 0x34f2, v66
	;; [unrolled: 1-line block ×3, first 2 shown]
	v_mul_f16_e32 v67, 0x34f2, v64
	v_mul_f16_e32 v78, 0x3a79, v77
	;; [unrolled: 1-line block ×4, first 2 shown]
	v_add_f16_e32 v68, v71, v68
	v_fma_f16 v63, v63, 0x3b9c, -v67
	v_fma_f16 v67, v74, 0x38b4, -v78
	;; [unrolled: 1-line block ×4, first 2 shown]
	v_add_f16_e32 v75, v81, v72
	v_sub_f16_e32 v72, v81, v72
	v_add_f16_e32 v79, v10, v63
	v_sub_f16_e32 v10, v10, v63
	;; [unrolled: 2-line block ×3, first 2 shown]
	v_mov_b32_e32 v91, 60
	v_mov_b32_e32 v63, 1
	v_mul_f16_e32 v71, 0x3b9c, v109
	v_mul_f16_e32 v66, 0xbb9c, v128
	v_fmac_f16_e32 v69, 0x3a79, v94
	v_mul_u32_u24_sdwa v11, v11, v91 dst_sel:DWORD dst_unused:UNUSED_PAD src0_sel:WORD_0 src1_sel:DWORD
	v_lshlrev_b32_sdwa v12, v63, v12 dst_sel:DWORD dst_unused:UNUSED_PAD src0_sel:DWORD src1_sel:BYTE_0
	v_mul_u32_u24_sdwa v13, v13, v91 dst_sel:DWORD dst_unused:UNUSED_PAD src0_sel:WORD_0 src1_sel:DWORD
	v_lshlrev_b32_sdwa v14, v63, v14 dst_sel:DWORD dst_unused:UNUSED_PAD src0_sel:DWORD src1_sel:BYTE_0
	v_fmac_f16_e32 v71, 0x34f2, v128
	v_add3_u32 v11, 0, v11, v12
	s_barrier
	buffer_gl0_inv
	ds_write_b16 v11, v106
	ds_write_b16 v11, v107 offset:6
	ds_write_b16 v11, v103 offset:12
	;; [unrolled: 1-line block ×5, first 2 shown]
	v_add3_u32 v98, 0, v13, v14
	v_mul_u32_u24_e32 v13, 60, v15
	v_lshlrev_b32_sdwa v14, v63, v16 dst_sel:DWORD dst_unused:UNUSED_PAD src0_sel:DWORD src1_sel:WORD_0
	v_add_f16_e32 v68, v68, v97
	v_fmac_f16_e32 v66, 0x34f2, v109
	v_add_f16_e32 v77, v118, v69
	v_sub_f16_e32 v69, v118, v69
	v_add_f16_e32 v78, v127, v71
	v_sub_f16_e32 v71, v127, v71
	ds_write_b16 v11, v99 offset:36
	ds_write_b16 v11, v100 offset:42
	;; [unrolled: 1-line block ×4, first 2 shown]
	ds_write_b16 v98, v115
	ds_write_b16 v98, v117 offset:6
	v_add3_u32 v99, 0, v13, v14
	v_add_f16_e32 v97, v73, v68
	v_sub_f16_e32 v109, v73, v68
	v_add_f16_e32 v118, v122, v70
	v_sub_f16_e32 v122, v122, v70
	;; [unrolled: 2-line block ×5, first 2 shown]
	ds_write_b16 v98, v121 offset:12
	ds_write_b16 v98, v123 offset:18
	;; [unrolled: 1-line block ×8, first 2 shown]
	ds_write_b16 v99, v75
	ds_write_b16 v99, v77 offset:6
	ds_write_b16 v99, v78 offset:12
	;; [unrolled: 1-line block ×9, first 2 shown]
	s_waitcnt lgkmcnt(0)
	s_barrier
	buffer_gl0_inv
	ds_read_u16 v100, v61
	ds_read_u16 v14, v54
	ds_read_u16 v69, v54 offset:720
	ds_read_u16 v68, v54 offset:2340
	;; [unrolled: 1-line block ×23, first 2 shown]
	ds_read_u16 v129, v60
	ds_read_u16 v79, v62
	;; [unrolled: 1-line block ×4, first 2 shown]
	ds_read_u16 v67, v54 offset:5220
	s_waitcnt lgkmcnt(0)
	s_barrier
	buffer_gl0_inv
	ds_write_b16 v11, v85
	ds_write_b16 v11, v86 offset:6
	ds_write_b16 v11, v87 offset:12
	;; [unrolled: 1-line block ×9, first 2 shown]
	ds_write_b16 v98, v90
	ds_write_b16 v98, v93 offset:6
	ds_write_b16 v98, v96 offset:12
	v_mul_lo_u16 v11, v9, 30
	ds_write_b16 v98, v110 offset:18
	ds_write_b16 v98, v113 offset:24
	;; [unrolled: 1-line block ×7, first 2 shown]
	ds_write_b16 v99, v97
	ds_write_b16 v99, v118 offset:6
	ds_write_b16 v99, v124 offset:12
	;; [unrolled: 1-line block ×8, first 2 shown]
	v_sub_nc_u16 v11, v41, v11
	ds_write_b16 v99, v112 offset:54
	s_waitcnt lgkmcnt(0)
	s_barrier
	buffer_gl0_inv
	v_mul_u32_u24_sdwa v12, v11, v7 dst_sel:DWORD dst_unused:UNUSED_PAD src0_sel:BYTE_0 src1_sel:DWORD
	v_lshlrev_b32_sdwa v11, v63, v11 dst_sel:DWORD dst_unused:UNUSED_PAD src0_sel:DWORD src1_sel:BYTE_0
	v_lshlrev_b32_e32 v18, 2, v12
	v_mul_lo_u16 v12, v8, 30
	s_clause 0x1
	global_load_dwordx4 v[83:86], v18, s[8:9] offset:108
	global_load_dwordx4 v[101:104], v18, s[8:9] offset:124
	v_sub_nc_u16 v5, v5, v12
	v_mul_u32_u24_sdwa v12, v5, v7 dst_sel:DWORD dst_unused:UNUSED_PAD src0_sel:BYTE_0 src1_sel:DWORD
	v_lshlrev_b32_sdwa v5, v63, v5 dst_sel:DWORD dst_unused:UNUSED_PAD src0_sel:DWORD src1_sel:BYTE_0
	v_lshlrev_b32_e32 v65, 2, v12
	v_mov_b32_e32 v12, 0x8889
	s_clause 0x1
	global_load_dwordx4 v[110:113], v65, s[8:9] offset:108
	global_load_dwordx4 v[115:118], v65, s[8:9] offset:124
	v_mul_u32_u24_sdwa v12, v3, v12 dst_sel:DWORD dst_unused:UNUSED_PAD src0_sel:WORD_0 src1_sel:DWORD
	v_lshrrev_b32_e32 v12, 20, v12
	v_mul_lo_u16 v78, v12, 30
	v_sub_nc_u16 v3, v3, v78
	v_mul_u32_u24_sdwa v7, v3, v7 dst_sel:DWORD dst_unused:UNUSED_PAD src0_sel:WORD_0 src1_sel:DWORD
	v_lshlrev_b32_sdwa v3, v63, v3 dst_sel:DWORD dst_unused:UNUSED_PAD src0_sel:DWORD src1_sel:WORD_0
	v_lshlrev_b32_e32 v7, 2, v7
	s_clause 0x4
	global_load_dwordx4 v[119:122], v7, s[8:9] offset:108
	global_load_dwordx4 v[123:126], v7, s[8:9] offset:124
	global_load_dword v127, v18, s[8:9] offset:140
	global_load_dword v128, v65, s[8:9] offset:140
	;; [unrolled: 1-line block ×3, first 2 shown]
	ds_read_u16 v18, v62
	ds_read_u16 v65, v60
	;; [unrolled: 1-line block ×3, first 2 shown]
	ds_read_u16 v82, v54 offset:2160
	ds_read_u16 v97, v54 offset:2700
	;; [unrolled: 1-line block ×3, first 2 shown]
	ds_read_u16 v7, v59
	ds_read_u16 v109, v54 offset:3780
	ds_read_u16 v130, v54 offset:3960
	;; [unrolled: 1-line block ×7, first 2 shown]
	s_waitcnt vmcnt(8)
	v_mul_f16_sdwa v78, v79, v83 dst_sel:DWORD dst_unused:UNUSED_PAD src0_sel:DWORD src1_sel:WORD_1
	s_waitcnt lgkmcnt(13)
	v_mul_f16_sdwa v87, v18, v83 dst_sel:DWORD dst_unused:UNUSED_PAD src0_sel:DWORD src1_sel:WORD_1
	v_mul_f16_sdwa v88, v129, v84 dst_sel:DWORD dst_unused:UNUSED_PAD src0_sel:DWORD src1_sel:WORD_1
	;; [unrolled: 1-line block ×3, first 2 shown]
	s_waitcnt vmcnt(7)
	v_mul_f16_sdwa v99, v106, v102 dst_sel:DWORD dst_unused:UNUSED_PAD src0_sel:DWORD src1_sel:WORD_1
	v_fmac_f16_e32 v78, v18, v83
	s_waitcnt lgkmcnt(12)
	v_mul_f16_sdwa v18, v65, v84 dst_sel:DWORD dst_unused:UNUSED_PAD src0_sel:DWORD src1_sel:WORD_1
	v_fma_f16 v79, v79, v83, -v87
	s_waitcnt lgkmcnt(11)
	v_mul_f16_sdwa v87, v80, v85 dst_sel:DWORD dst_unused:UNUSED_PAD src0_sel:DWORD src1_sel:WORD_1
	v_mul_f16_sdwa v83, v100, v85 dst_sel:DWORD dst_unused:UNUSED_PAD src0_sel:DWORD src1_sel:WORD_1
	v_fmac_f16_e32 v88, v65, v84
	v_fma_f16 v92, v129, v84, -v18
	s_waitcnt lgkmcnt(10)
	v_mul_f16_sdwa v18, v82, v86 dst_sel:DWORD dst_unused:UNUSED_PAD src0_sel:DWORD src1_sel:WORD_1
	ds_read_u16 v65, v54 offset:2520
	v_fma_f16 v87, v100, v85, -v87
	v_fmac_f16_e32 v83, v80, v85
	v_fmac_f16_e32 v89, v82, v86
	v_fma_f16 v93, v105, v86, -v18
	ds_read_u16 v18, v54 offset:4320
	ds_read_u16 v84, v54 offset:720
	;; [unrolled: 1-line block ×10, first 2 shown]
	s_waitcnt lgkmcnt(20)
	v_mul_f16_sdwa v80, v97, v101 dst_sel:DWORD dst_unused:UNUSED_PAD src0_sel:DWORD src1_sel:WORD_1
	v_mul_f16_sdwa v96, v107, v101 dst_sel:DWORD dst_unused:UNUSED_PAD src0_sel:DWORD src1_sel:WORD_1
	s_waitcnt lgkmcnt(12)
	v_fmac_f16_e32 v99, v114, v102
	v_mul_f16_sdwa v100, v77, v104 dst_sel:DWORD dst_unused:UNUSED_PAD src0_sel:DWORD src1_sel:WORD_1
	v_fma_f16 v98, v107, v101, -v80
	v_mul_f16_sdwa v80, v114, v102 dst_sel:DWORD dst_unused:UNUSED_PAD src0_sel:DWORD src1_sel:WORD_1
	ds_read_u16 v138, v54 offset:1440
	ds_read_u16 v139, v54 offset:900
	ds_read_u16 v114, v54
	v_mul_f16_sdwa v107, v109, v103 dst_sel:DWORD dst_unused:UNUSED_PAD src0_sel:DWORD src1_sel:WORD_1
	v_fmac_f16_e32 v96, v97, v101
	v_mul_f16_sdwa v97, v76, v103 dst_sel:DWORD dst_unused:UNUSED_PAD src0_sel:DWORD src1_sel:WORD_1
	v_fma_f16 v101, v106, v102, -v80
	v_fma_f16 v102, v76, v103, -v107
	s_waitcnt lgkmcnt(12)
	v_mul_f16_sdwa v80, v18, v104 dst_sel:DWORD dst_unused:UNUSED_PAD src0_sel:DWORD src1_sel:WORD_1
	s_waitcnt vmcnt(6) lgkmcnt(11)
	v_mul_f16_sdwa v106, v84, v110 dst_sel:DWORD dst_unused:UNUSED_PAD src0_sel:DWORD src1_sel:WORD_1
	v_fmac_f16_e32 v97, v109, v103
	v_fmac_f16_e32 v100, v18, v104
	s_waitcnt lgkmcnt(5)
	v_mul_f16_sdwa v18, v82, v111 dst_sel:DWORD dst_unused:UNUSED_PAD src0_sel:DWORD src1_sel:WORD_1
	v_fma_f16 v103, v77, v104, -v80
	v_fma_f16 v76, v69, v110, -v106
	v_mul_f16_sdwa v77, v69, v110 dst_sel:DWORD dst_unused:UNUSED_PAD src0_sel:DWORD src1_sel:WORD_1
	s_waitcnt lgkmcnt(4)
	v_mul_f16_sdwa v69, v85, v112 dst_sel:DWORD dst_unused:UNUSED_PAD src0_sel:DWORD src1_sel:WORD_1
	v_mul_f16_sdwa v106, v81, v111 dst_sel:DWORD dst_unused:UNUSED_PAD src0_sel:DWORD src1_sel:WORD_1
	;; [unrolled: 1-line block ×4, first 2 shown]
	v_fmac_f16_e32 v77, v84, v110
	v_fma_f16 v110, v81, v111, -v18
	v_fma_f16 v84, v74, v112, -v69
	s_waitcnt lgkmcnt(3)
	v_mul_f16_sdwa v18, v137, v113 dst_sel:DWORD dst_unused:UNUSED_PAD src0_sel:DWORD src1_sel:WORD_1
	s_waitcnt vmcnt(5)
	v_mul_f16_sdwa v69, v108, v115 dst_sel:DWORD dst_unused:UNUSED_PAD src0_sel:DWORD src1_sel:WORD_1
	v_mul_f16_sdwa v81, v91, v115 dst_sel:DWORD dst_unused:UNUSED_PAD src0_sel:DWORD src1_sel:WORD_1
	v_fmac_f16_e32 v106, v82, v111
	v_fmac_f16_e32 v80, v85, v112
	v_mul_f16_sdwa v74, v133, v116 dst_sel:DWORD dst_unused:UNUSED_PAD src0_sel:DWORD src1_sel:WORD_1
	v_fma_f16 v111, v68, v113, -v18
	v_fma_f16 v85, v91, v115, -v69
	v_fmac_f16_e32 v81, v108, v115
	v_mul_f16_sdwa v68, v86, v118 dst_sel:DWORD dst_unused:UNUSED_PAD src0_sel:DWORD src1_sel:WORD_1
	s_waitcnt vmcnt(4) lgkmcnt(2)
	v_mul_f16_sdwa v69, v138, v120 dst_sel:DWORD dst_unused:UNUSED_PAD src0_sel:DWORD src1_sel:WORD_1
	ds_read_u16 v115, v54 offset:5220
	v_fmac_f16_e32 v107, v137, v113
	v_fma_f16 v112, v71, v116, -v74
	v_mul_f16_sdwa v108, v71, v116 dst_sel:DWORD dst_unused:UNUSED_PAD src0_sel:DWORD src1_sel:WORD_1
	v_mul_f16_sdwa v18, v130, v117 dst_sel:DWORD dst_unused:UNUSED_PAD src0_sel:DWORD src1_sel:WORD_1
	;; [unrolled: 1-line block ×3, first 2 shown]
	v_fma_f16 v113, v73, v118, -v68
	v_mul_f16_sdwa v73, v131, v121 dst_sel:DWORD dst_unused:UNUSED_PAD src0_sel:DWORD src1_sel:WORD_1
	v_fma_f16 v71, v64, v120, -v69
	v_mul_f16_sdwa v69, v70, v122 dst_sel:DWORD dst_unused:UNUSED_PAD src0_sel:DWORD src1_sel:WORD_1
	s_waitcnt vmcnt(3)
	v_mul_f16_sdwa v74, v134, v123 dst_sel:DWORD dst_unused:UNUSED_PAD src0_sel:DWORD src1_sel:WORD_1
	v_mul_f16_sdwa v82, v15, v117 dst_sel:DWORD dst_unused:UNUSED_PAD src0_sel:DWORD src1_sel:WORD_1
	v_fma_f16 v91, v15, v117, -v18
	v_fmac_f16_e32 v109, v86, v118
	s_waitcnt lgkmcnt(2)
	v_mul_f16_sdwa v18, v139, v119 dst_sel:DWORD dst_unused:UNUSED_PAD src0_sel:DWORD src1_sel:WORD_1
	v_mul_f16_sdwa v68, v64, v120 dst_sel:DWORD dst_unused:UNUSED_PAD src0_sel:DWORD src1_sel:WORD_1
	v_fma_f16 v64, v17, v121, -v73
	v_mul_f16_sdwa v73, v65, v122 dst_sel:DWORD dst_unused:UNUSED_PAD src0_sel:DWORD src1_sel:WORD_1
	v_fmac_f16_e32 v69, v65, v122
	v_fma_f16 v65, v19, v123, -v74
	v_mul_f16_sdwa v74, v132, v124 dst_sel:DWORD dst_unused:UNUSED_PAD src0_sel:DWORD src1_sel:WORD_1
	v_mul_f16_sdwa v86, v136, v125 dst_sel:DWORD dst_unused:UNUSED_PAD src0_sel:DWORD src1_sel:WORD_1
	;; [unrolled: 1-line block ×3, first 2 shown]
	v_fmac_f16_e32 v82, v130, v117
	v_mul_f16_sdwa v15, v16, v119 dst_sel:DWORD dst_unused:UNUSED_PAD src0_sel:DWORD src1_sel:WORD_1
	v_fma_f16 v16, v16, v119, -v18
	v_mul_f16_sdwa v18, v19, v123 dst_sel:DWORD dst_unused:UNUSED_PAD src0_sel:DWORD src1_sel:WORD_1
	v_fma_f16 v73, v70, v122, -v73
	v_mul_f16_sdwa v70, v66, v124 dst_sel:DWORD dst_unused:UNUSED_PAD src0_sel:DWORD src1_sel:WORD_1
	v_mul_f16_sdwa v19, v75, v125 dst_sel:DWORD dst_unused:UNUSED_PAD src0_sel:DWORD src1_sel:WORD_1
	v_fma_f16 v74, v66, v124, -v74
	v_fma_f16 v66, v75, v125, -v86
	;; [unrolled: 1-line block ×3, first 2 shown]
	v_mul_f16_sdwa v72, v72, v126 dst_sel:DWORD dst_unused:UNUSED_PAD src0_sel:DWORD src1_sel:WORD_1
	s_waitcnt vmcnt(2)
	v_mul_f16_sdwa v104, v135, v127 dst_sel:DWORD dst_unused:UNUSED_PAD src0_sel:DWORD src1_sel:WORD_1
	s_waitcnt vmcnt(1)
	v_mul_f16_sdwa v117, v129, v128 dst_sel:DWORD dst_unused:UNUSED_PAD src0_sel:DWORD src1_sel:WORD_1
	v_mul_f16_sdwa v17, v17, v121 dst_sel:DWORD dst_unused:UNUSED_PAD src0_sel:DWORD src1_sel:WORD_1
	v_fmac_f16_e32 v108, v133, v116
	v_fmac_f16_e32 v72, v105, v126
	v_fma_f16 v118, v95, v127, -v104
	v_fma_f16 v104, v94, v128, -v117
	ds_read_u16 v117, v58
	s_waitcnt vmcnt(0) lgkmcnt(1)
	v_mul_f16_sdwa v105, v115, v90 dst_sel:DWORD dst_unused:UNUSED_PAD src0_sel:DWORD src1_sel:WORD_1
	v_fmac_f16_e32 v15, v139, v119
	v_fmac_f16_e32 v17, v131, v121
	v_mul_f16_sdwa v116, v95, v127 dst_sel:DWORD dst_unused:UNUSED_PAD src0_sel:DWORD src1_sel:WORD_1
	v_mul_f16_sdwa v86, v94, v128 dst_sel:DWORD dst_unused:UNUSED_PAD src0_sel:DWORD src1_sel:WORD_1
	v_add_f16_e32 v94, v93, v101
	v_mul_f16_sdwa v95, v67, v90 dst_sel:DWORD dst_unused:UNUSED_PAD src0_sel:DWORD src1_sel:WORD_1
	v_sub_f16_e32 v119, v92, v93
	v_sub_f16_e32 v121, v103, v101
	v_fma_f16 v105, v67, v90, -v105
	v_add_f16_e32 v67, v92, v103
	v_fmac_f16_e32 v68, v138, v120
	v_fma_f16 v94, -0.5, v94, v14
	v_sub_f16_e32 v120, v88, v100
	v_fmac_f16_e32 v95, v115, v90
	v_sub_f16_e32 v115, v89, v99
	v_add_f16_e32 v119, v119, v121
	v_add_f16_e32 v121, v14, v92
	v_fmac_f16_e32 v14, -0.5, v67
	v_fmac_f16_e32 v18, v134, v123
	v_fmamk_f16 v90, v120, 0x3b9c, v94
	v_fmac_f16_e32 v94, 0xbb9c, v120
	v_sub_f16_e32 v67, v93, v92
	v_sub_f16_e32 v122, v101, v103
	v_fmamk_f16 v123, v115, 0xbb9c, v14
	v_fmac_f16_e32 v14, 0x3b9c, v115
	v_add_f16_e32 v121, v121, v93
	v_fmac_f16_e32 v90, 0x38b4, v115
	v_fmac_f16_e32 v94, 0xb8b4, v115
	v_add_f16_e32 v67, v67, v122
	v_fmac_f16_e32 v123, 0x38b4, v120
	;; [unrolled: 3-line block ×3, first 2 shown]
	v_fmac_f16_e32 v94, 0x34f2, v119
	v_fmac_f16_e32 v123, 0x34f2, v67
	;; [unrolled: 1-line block ×3, first 2 shown]
	v_add_f16_e32 v67, v115, v103
	v_add_f16_e32 v115, v114, v88
	;; [unrolled: 1-line block ×3, first 2 shown]
	v_sub_f16_e32 v93, v93, v101
	v_add_f16_e32 v101, v88, v100
	v_sub_f16_e32 v92, v92, v103
	v_sub_f16_e32 v103, v88, v89
	;; [unrolled: 1-line block ×3, first 2 shown]
	v_add_f16_e32 v115, v115, v89
	v_fma_f16 v119, -0.5, v119, v114
	v_fmac_f16_e32 v114, -0.5, v101
	v_sub_f16_e32 v88, v89, v88
	v_add_f16_e32 v103, v103, v120
	v_add_f16_e32 v115, v115, v99
	v_fmamk_f16 v120, v92, 0xbb9c, v119
	v_fmac_f16_e32 v119, 0x3b9c, v92
	v_sub_f16_e32 v89, v99, v100
	v_fmamk_f16 v99, v93, 0x3b9c, v114
	v_fmac_f16_e32 v114, 0xbb9c, v93
	v_fmac_f16_e32 v116, v135, v127
	v_add_f16_e32 v115, v115, v100
	v_fmac_f16_e32 v120, 0xb8b4, v93
	v_fmac_f16_e32 v119, 0x38b4, v93
	v_add_f16_e32 v93, v98, v102
	v_add_f16_e32 v88, v88, v89
	v_fmac_f16_e32 v99, 0xb8b4, v92
	v_sub_f16_e32 v89, v87, v98
	v_sub_f16_e32 v100, v118, v102
	v_fmac_f16_e32 v114, 0x38b4, v92
	v_add_f16_e32 v92, v87, v118
	v_fma_f16 v93, -0.5, v93, v79
	v_sub_f16_e32 v101, v83, v116
	v_add_f16_e32 v89, v89, v100
	v_add_f16_e32 v100, v79, v87
	v_sub_f16_e32 v121, v96, v97
	v_fmac_f16_e32 v79, -0.5, v92
	v_fmac_f16_e32 v70, v132, v124
	v_fmac_f16_e32 v120, 0x34f2, v103
	;; [unrolled: 1-line block ×3, first 2 shown]
	v_fmamk_f16 v103, v101, 0x3b9c, v93
	v_fmac_f16_e32 v93, 0xbb9c, v101
	v_sub_f16_e32 v92, v98, v87
	v_sub_f16_e32 v122, v102, v118
	v_fmamk_f16 v124, v121, 0xbb9c, v79
	v_fmac_f16_e32 v79, 0x3b9c, v121
	v_fmac_f16_e32 v103, 0x38b4, v121
	;; [unrolled: 1-line block ×3, first 2 shown]
	v_add_f16_e32 v92, v92, v122
	v_fmac_f16_e32 v124, 0x38b4, v101
	v_fmac_f16_e32 v79, 0xb8b4, v101
	v_add_f16_e32 v100, v100, v98
	v_fmac_f16_e32 v103, 0x34f2, v89
	v_fmac_f16_e32 v93, 0x34f2, v89
	;; [unrolled: 1-line block ×4, first 2 shown]
	v_add_f16_e32 v89, v96, v97
	v_sub_f16_e32 v92, v98, v102
	v_add_f16_e32 v98, v83, v116
	v_fmac_f16_e32 v99, 0x34f2, v88
	v_fmac_f16_e32 v114, 0x34f2, v88
	v_add_f16_e32 v88, v100, v102
	v_sub_f16_e32 v87, v87, v118
	v_add_f16_e32 v100, v78, v83
	v_fma_f16 v89, -0.5, v89, v78
	v_fmac_f16_e32 v78, -0.5, v98
	v_add_f16_e32 v88, v88, v118
	v_sub_f16_e32 v101, v83, v96
	v_sub_f16_e32 v102, v116, v97
	v_add_f16_e32 v98, v100, v96
	v_sub_f16_e32 v83, v96, v83
	v_fmamk_f16 v96, v87, 0xbb9c, v89
	v_sub_f16_e32 v100, v97, v116
	v_fmamk_f16 v118, v92, 0x3b9c, v78
	v_add_f16_e32 v101, v101, v102
	v_fmac_f16_e32 v89, 0x3b9c, v87
	v_fmac_f16_e32 v96, 0xb8b4, v92
	v_add_f16_e32 v83, v83, v100
	v_fmac_f16_e32 v118, 0xb8b4, v87
	v_fmac_f16_e32 v78, 0xbb9c, v92
	;; [unrolled: 3-line block ×3, first 2 shown]
	v_fmac_f16_e32 v118, 0x34f2, v83
	v_fmac_f16_e32 v78, 0x38b4, v87
	v_add_f16_e32 v100, v97, v116
	v_mul_f16_e32 v87, 0x38b4, v96
	v_mul_f16_e32 v92, 0xb8b4, v103
	;; [unrolled: 1-line block ×3, first 2 shown]
	v_fmac_f16_e32 v89, 0x34f2, v101
	v_fmac_f16_e32 v78, 0x34f2, v83
	v_mul_f16_e32 v116, 0xbb9c, v124
	v_mul_f16_e32 v83, 0x34f2, v79
	v_mul_f16_e32 v97, 0x3a79, v93
	v_fmac_f16_e32 v87, 0x3a79, v103
	v_fmac_f16_e32 v92, 0x3a79, v96
	;; [unrolled: 1-line block ×3, first 2 shown]
	v_mul_f16_e32 v96, 0x34f2, v78
	v_mul_f16_e32 v101, 0x3a79, v89
	v_fmac_f16_e32 v116, 0x34f2, v118
	v_fma_f16 v83, v78, 0x3b9c, -v83
	v_fma_f16 v89, v89, 0x38b4, -v97
	;; [unrolled: 1-line block ×4, first 2 shown]
	v_add_f16_e32 v102, v67, v88
	v_sub_f16_e32 v67, v67, v88
	v_add_f16_e32 v103, v90, v87
	v_sub_f16_e32 v78, v90, v87
	v_add_f16_e32 v97, v123, v98
	v_sub_f16_e32 v79, v123, v98
	v_add_f16_e32 v98, v14, v83
	v_sub_f16_e32 v83, v14, v83
	v_add_f16_e32 v101, v94, v89
	v_sub_f16_e32 v96, v94, v89
	v_add_f16_e32 v89, v115, v100
	v_sub_f16_e32 v14, v115, v100
	v_add_f16_e32 v90, v120, v92
	v_sub_f16_e32 v87, v120, v92
	v_add_f16_e32 v92, v99, v116
	v_add_f16_e32 v94, v111, v112
	v_sub_f16_e32 v88, v99, v116
	v_sub_f16_e32 v99, v110, v111
	;; [unrolled: 1-line block ×3, first 2 shown]
	v_add_f16_e32 v120, v110, v113
	v_add_f16_e32 v93, v114, v118
	v_fma_f16 v115, -0.5, v94, v13
	v_sub_f16_e32 v116, v106, v109
	v_sub_f16_e32 v94, v114, v118
	v_add_f16_e32 v114, v99, v100
	v_add_f16_e32 v99, v13, v110
	v_sub_f16_e32 v100, v107, v108
	v_fmac_f16_e32 v13, -0.5, v120
	v_sub_f16_e32 v120, v111, v110
	v_sub_f16_e32 v122, v112, v113
	v_fmamk_f16 v118, v116, 0x3b9c, v115
	v_fmac_f16_e32 v115, 0xbb9c, v116
	v_fmamk_f16 v123, v100, 0xbb9c, v13
	v_fmac_f16_e32 v13, 0x3b9c, v100
	v_add_f16_e32 v120, v120, v122
	v_add_f16_e32 v122, v99, v111
	v_fmac_f16_e32 v118, 0x38b4, v100
	v_fmac_f16_e32 v115, 0xb8b4, v100
	;; [unrolled: 1-line block ×4, first 2 shown]
	v_add_f16_e32 v116, v122, v112
	v_add_f16_e32 v100, v119, v121
	v_sub_f16_e32 v99, v119, v121
	v_fmac_f16_e32 v118, 0x34f2, v114
	v_fmac_f16_e32 v115, 0x34f2, v114
	v_add_f16_e32 v114, v116, v113
	s_waitcnt lgkmcnt(0)
	v_add_f16_e32 v116, v117, v106
	v_add_f16_e32 v119, v107, v108
	v_fmac_f16_e32 v123, 0x34f2, v120
	v_fmac_f16_e32 v13, 0x34f2, v120
	v_sub_f16_e32 v110, v110, v113
	v_sub_f16_e32 v113, v106, v107
	;; [unrolled: 1-line block ×3, first 2 shown]
	v_add_f16_e32 v116, v116, v107
	v_fma_f16 v119, -0.5, v119, v117
	v_sub_f16_e32 v111, v111, v112
	v_add_f16_e32 v112, v106, v109
	v_add_f16_e32 v113, v113, v120
	v_add_f16_e32 v116, v116, v108
	v_fmamk_f16 v120, v110, 0xbb9c, v119
	v_fmac_f16_e32 v119, 0x3b9c, v110
	v_fmac_f16_e32 v117, -0.5, v112
	v_sub_f16_e32 v106, v107, v106
	v_sub_f16_e32 v108, v108, v109
	v_fmac_f16_e32 v120, 0xb8b4, v111
	v_fmac_f16_e32 v119, 0x38b4, v111
	v_fmamk_f16 v112, v111, 0x3b9c, v117
	v_fmac_f16_e32 v117, 0xbb9c, v111
	v_add_f16_e32 v106, v106, v108
	v_sub_f16_e32 v108, v84, v85
	v_sub_f16_e32 v111, v104, v91
	v_fmac_f16_e32 v86, v129, v128
	v_add_f16_e32 v107, v116, v109
	v_add_f16_e32 v109, v85, v91
	v_fmac_f16_e32 v120, 0x34f2, v113
	v_add_f16_e32 v108, v108, v111
	v_add_f16_e32 v111, v76, v84
	v_fmac_f16_e32 v119, 0x34f2, v113
	v_fmac_f16_e32 v112, 0xb8b4, v110
	v_fma_f16 v109, -0.5, v109, v76
	v_sub_f16_e32 v113, v80, v86
	v_fmac_f16_e32 v117, 0x38b4, v110
	v_add_f16_e32 v110, v84, v104
	v_add_f16_e32 v111, v111, v85
	v_sub_f16_e32 v121, v81, v82
	v_fmamk_f16 v116, v113, 0x3b9c, v109
	v_fmac_f16_e32 v109, 0xbb9c, v113
	v_fmac_f16_e32 v76, -0.5, v110
	v_fmac_f16_e32 v112, 0x34f2, v106
	v_fmac_f16_e32 v117, 0x34f2, v106
	v_add_f16_e32 v106, v111, v91
	v_sub_f16_e32 v110, v85, v84
	v_sub_f16_e32 v122, v91, v104
	v_fmac_f16_e32 v116, 0x38b4, v121
	v_fmamk_f16 v124, v121, 0xbb9c, v76
	v_fmac_f16_e32 v76, 0x3b9c, v121
	v_fmac_f16_e32 v109, 0xb8b4, v121
	v_add_f16_e32 v106, v106, v104
	v_sub_f16_e32 v84, v84, v104
	v_add_f16_e32 v104, v81, v82
	v_sub_f16_e32 v85, v85, v91
	v_add_f16_e32 v91, v80, v86
	v_add_f16_e32 v110, v110, v122
	v_fmac_f16_e32 v124, 0x38b4, v113
	v_fmac_f16_e32 v76, 0xb8b4, v113
	;; [unrolled: 1-line block ×4, first 2 shown]
	v_add_f16_e32 v108, v77, v80
	v_fma_f16 v104, -0.5, v104, v77
	v_fmac_f16_e32 v77, -0.5, v91
	v_fmac_f16_e32 v124, 0x34f2, v110
	v_fmac_f16_e32 v76, 0x34f2, v110
	v_sub_f16_e32 v110, v80, v81
	v_sub_f16_e32 v111, v86, v82
	v_add_f16_e32 v91, v108, v81
	v_sub_f16_e32 v80, v81, v80
	v_fmamk_f16 v81, v84, 0xbb9c, v104
	v_sub_f16_e32 v108, v82, v86
	v_fmamk_f16 v113, v85, 0x3b9c, v77
	v_fmac_f16_e32 v77, 0xbb9c, v85
	v_add_f16_e32 v110, v110, v111
	v_fmac_f16_e32 v81, 0xb8b4, v85
	v_add_f16_e32 v80, v80, v108
	v_fmac_f16_e32 v104, 0x3b9c, v84
	v_fmac_f16_e32 v77, 0x38b4, v84
	;; [unrolled: 1-line block ×4, first 2 shown]
	v_add_f16_e32 v82, v91, v82
	v_fmac_f16_e32 v104, 0x38b4, v85
	v_mul_f16_e32 v85, 0xb8b4, v116
	v_fmac_f16_e32 v77, 0x34f2, v80
	v_fmac_f16_e32 v113, 0x34f2, v80
	v_mul_f16_e32 v84, 0x38b4, v81
	v_fmac_f16_e32 v104, 0x34f2, v110
	v_fmac_f16_e32 v85, 0x3a79, v81
	v_mul_f16_e32 v80, 0xbb9c, v124
	v_mul_f16_e32 v81, 0x34f2, v76
	;; [unrolled: 1-line block ×4, first 2 shown]
	v_add_f16_e32 v82, v82, v86
	v_mul_f16_e32 v110, 0x3a79, v104
	v_fmac_f16_e32 v80, 0x34f2, v113
	v_fma_f16 v77, v77, 0x3b9c, -v81
	v_fma_f16 v76, v76, 0xbb9c, -v91
	;; [unrolled: 1-line block ×3, first 2 shown]
	v_mul_f16_e32 v86, 0x3b9c, v113
	v_fmac_f16_e32 v84, 0x3a79, v116
	v_fma_f16 v91, v109, 0xb8b4, -v110
	v_add_f16_e32 v104, v114, v106
	v_sub_f16_e32 v106, v114, v106
	v_add_f16_e32 v114, v13, v77
	v_sub_f16_e32 v77, v13, v77
	;; [unrolled: 2-line block ×5, first 2 shown]
	v_add_f16_e32 v110, v112, v80
	v_add_f16_e32 v82, v73, v74
	v_sub_f16_e32 v112, v112, v80
	v_add_f16_e32 v115, v117, v76
	v_sub_f16_e32 v80, v71, v73
	v_sub_f16_e32 v85, v75, v74
	;; [unrolled: 1-line block ×3, first 2 shown]
	v_add_f16_e32 v76, v71, v75
	v_fmac_f16_e32 v86, 0x34f2, v124
	v_add_f16_e32 v111, v118, v84
	v_sub_f16_e32 v84, v118, v84
	v_fma_f16 v82, -0.5, v82, v10
	v_sub_f16_e32 v118, v68, v72
	v_add_f16_e32 v80, v80, v85
	v_add_f16_e32 v85, v10, v71
	v_sub_f16_e32 v121, v69, v70
	v_fmac_f16_e32 v10, -0.5, v76
	v_add_f16_e32 v113, v123, v86
	v_sub_f16_e32 v86, v123, v86
	v_fmamk_f16 v120, v118, 0x3b9c, v82
	v_fmac_f16_e32 v82, 0xbb9c, v118
	v_sub_f16_e32 v76, v73, v71
	v_sub_f16_e32 v122, v74, v75
	v_fmamk_f16 v123, v121, 0xbb9c, v10
	v_fmac_f16_e32 v10, 0x3b9c, v121
	v_add_f16_e32 v85, v85, v73
	v_fmac_f16_e32 v120, 0x38b4, v121
	v_fmac_f16_e32 v82, 0xb8b4, v121
	v_add_f16_e32 v76, v76, v122
	v_fmac_f16_e32 v123, 0x38b4, v118
	;; [unrolled: 3-line block ×3, first 2 shown]
	v_fmac_f16_e32 v82, 0x34f2, v80
	v_fmac_f16_e32 v123, 0x34f2, v76
	v_fmac_f16_e32 v10, 0x34f2, v76
	v_add_f16_e32 v76, v85, v75
	v_add_f16_e32 v80, v7, v68
	;; [unrolled: 1-line block ×4, first 2 shown]
	v_sub_f16_e32 v119, v119, v91
	v_sub_f16_e32 v71, v71, v75
	;; [unrolled: 1-line block ×4, first 2 shown]
	v_add_f16_e32 v80, v80, v69
	v_fma_f16 v85, -0.5, v85, v7
	v_sub_f16_e32 v73, v73, v74
	v_add_f16_e32 v74, v68, v72
	v_add_f16_e32 v75, v75, v91
	;; [unrolled: 1-line block ×3, first 2 shown]
	v_fmamk_f16 v91, v71, 0xbb9c, v85
	v_fmac_f16_e32 v85, 0x3b9c, v71
	v_fmac_f16_e32 v7, -0.5, v74
	v_sub_f16_e32 v68, v69, v68
	v_add_f16_e32 v69, v80, v72
	v_fmac_f16_e32 v91, 0xb8b4, v73
	v_fmac_f16_e32 v85, 0x38b4, v73
	v_sub_f16_e32 v70, v70, v72
	v_fmamk_f16 v72, v73, 0x3b9c, v7
	v_fmac_f16_e32 v7, 0xbb9c, v73
	v_add_f16_e32 v73, v65, v66
	v_fmac_f16_e32 v19, v136, v125
	v_fmac_f16_e32 v91, 0x34f2, v75
	;; [unrolled: 1-line block ×3, first 2 shown]
	v_add_f16_e32 v68, v68, v70
	v_fmac_f16_e32 v72, 0xb8b4, v71
	v_sub_f16_e32 v70, v64, v65
	v_sub_f16_e32 v74, v105, v66
	v_fma_f16 v73, -0.5, v73, v16
	v_sub_f16_e32 v75, v17, v95
	v_fmac_f16_e32 v7, 0x38b4, v71
	v_add_f16_e32 v71, v64, v105
	v_add_f16_e32 v70, v70, v74
	;; [unrolled: 1-line block ×3, first 2 shown]
	v_fmamk_f16 v80, v75, 0x3b9c, v73
	v_sub_f16_e32 v121, v18, v19
	v_fmac_f16_e32 v16, -0.5, v71
	v_fmac_f16_e32 v73, 0xbb9c, v75
	v_sub_f16_e32 v71, v65, v64
	v_sub_f16_e32 v122, v66, v105
	v_fmac_f16_e32 v80, 0x38b4, v121
	v_fmamk_f16 v124, v121, 0xbb9c, v16
	v_fmac_f16_e32 v16, 0x3b9c, v121
	v_fmac_f16_e32 v73, 0xb8b4, v121
	v_add_f16_e32 v74, v74, v65
	v_add_f16_e32 v71, v71, v122
	v_fmac_f16_e32 v124, 0x38b4, v75
	v_fmac_f16_e32 v16, 0xb8b4, v75
	;; [unrolled: 1-line block ×4, first 2 shown]
	v_add_f16_e32 v68, v74, v66
	v_fmac_f16_e32 v80, 0x34f2, v70
	v_fmac_f16_e32 v73, 0x34f2, v70
	v_add_f16_e32 v70, v18, v19
	v_sub_f16_e32 v65, v65, v66
	v_add_f16_e32 v66, v17, v95
	v_fmac_f16_e32 v124, 0x34f2, v71
	v_fmac_f16_e32 v16, 0x34f2, v71
	v_add_f16_e32 v71, v15, v17
	v_fma_f16 v70, -0.5, v70, v15
	v_fmac_f16_e32 v15, -0.5, v66
	v_add_f16_e32 v68, v68, v105
	v_sub_f16_e32 v64, v64, v105
	v_sub_f16_e32 v74, v17, v18
	v_add_f16_e32 v66, v71, v18
	v_sub_f16_e32 v17, v18, v17
	v_sub_f16_e32 v71, v19, v95
	v_fmamk_f16 v105, v65, 0x3b9c, v15
	v_fmac_f16_e32 v15, 0xbb9c, v65
	v_sub_f16_e32 v75, v95, v19
	v_fmamk_f16 v18, v64, 0xbb9c, v70
	v_add_f16_e32 v17, v17, v71
	v_fmac_f16_e32 v70, 0x3b9c, v64
	v_fmac_f16_e32 v15, 0x38b4, v64
	v_add_f16_e32 v74, v74, v75
	v_fmac_f16_e32 v18, 0xb8b4, v65
	v_fmac_f16_e32 v105, 0xb8b4, v64
	v_fmac_f16_e32 v70, 0x38b4, v65
	v_fmac_f16_e32 v15, 0x34f2, v17
	v_mul_f16_e32 v65, 0xb8b4, v80
	v_fmac_f16_e32 v18, 0x34f2, v74
	v_fmac_f16_e32 v105, 0x34f2, v17
	;; [unrolled: 1-line block ×3, first 2 shown]
	v_mul_f16_e32 v71, 0x34f2, v15
	v_add_f16_e32 v19, v66, v19
	v_mul_f16_e32 v64, 0x38b4, v18
	v_fmac_f16_e32 v65, 0x3a79, v18
	v_mul_f16_e32 v18, 0x34f2, v16
	v_fma_f16 v16, v16, 0xbb9c, -v71
	v_add_f16_e32 v71, v76, v68
	v_sub_f16_e32 v68, v76, v68
	v_mov_b32_e32 v76, 0x258
	v_mul_f16_e32 v66, 0x3b9c, v105
	v_mul_f16_e32 v74, 0x3a79, v73
	v_fmac_f16_e32 v64, 0x3a79, v80
	v_mul_f16_e32 v75, 0x3a79, v70
	v_mul_u32_u24_sdwa v8, v8, v76 dst_sel:DWORD dst_unused:UNUSED_PAD src0_sel:WORD_0 src1_sel:DWORD
	v_mul_u32_u24_sdwa v9, v9, v76 dst_sel:DWORD dst_unused:UNUSED_PAD src0_sel:WORD_0 src1_sel:DWORD
	v_fmac_f16_e32 v66, 0x34f2, v124
	v_mul_f16_e32 v17, 0xbb9c, v124
	v_fma_f16 v15, v15, 0x3b9c, -v18
	v_add3_u32 v5, 0, v8, v5
	v_mul_u32_u24_e32 v8, 0x258, v12
	v_fma_f16 v18, v70, 0x38b4, -v74
	v_add3_u32 v9, 0, v9, v11
	v_fma_f16 v70, v73, 0xb8b4, -v75
	v_add_f16_e32 v73, v120, v64
	v_sub_f16_e32 v64, v120, v64
	v_add3_u32 v12, 0, v8, v3
	v_add_f16_e32 v19, v19, v95
	v_fmac_f16_e32 v17, 0x34f2, v105
	v_add_f16_e32 v74, v123, v66
	v_sub_f16_e32 v66, v123, v66
	v_add_f16_e32 v75, v10, v15
	v_sub_f16_e32 v10, v10, v15
	;; [unrolled: 2-line block ×4, first 2 shown]
	s_barrier
	buffer_gl0_inv
	ds_write_b16 v9, v102
	ds_write_b16 v9, v103 offset:60
	ds_write_b16 v9, v97 offset:120
	;; [unrolled: 1-line block ×9, first 2 shown]
	ds_write_b16 v5, v104
	ds_write_b16 v5, v111 offset:60
	ds_write_b16 v5, v113 offset:120
	;; [unrolled: 1-line block ×9, first 2 shown]
	ds_write_b16 v12, v71
	ds_write_b16 v12, v73 offset:60
	ds_write_b16 v12, v74 offset:120
	;; [unrolled: 1-line block ×8, first 2 shown]
	v_lshl_add_u32 v64, v45, 1, 0
	v_lshl_add_u32 v65, v46, 1, 0
	v_mov_b32_e32 v3, 0
	v_lshl_add_u32 v66, v48, 1, 0
	v_add_f16_e32 v120, v69, v19
	v_sub_f16_e32 v19, v69, v19
	v_add_f16_e32 v123, v72, v17
	v_sub_f16_e32 v17, v72, v17
	;; [unrolled: 2-line block ×4, first 2 shown]
	ds_write_b16 v12, v18 offset:540
	s_waitcnt lgkmcnt(0)
	s_barrier
	buffer_gl0_inv
	ds_read_u16 v68, v64
	ds_read_u16 v97, v54 offset:3960
	ds_read_u16 v95, v54 offset:4140
	;; [unrolled: 1-line block ×3, first 2 shown]
	ds_read_u16 v74, v54
	ds_read_u16 v104, v54 offset:1800
	ds_read_u16 v103, v54 offset:1980
	;; [unrolled: 1-line block ×7, first 2 shown]
	v_lshl_add_u32 v67, v49, 1, 0
	ds_read_u16 v72, v65
	ds_read_u16 v70, v66
	;; [unrolled: 1-line block ×6, first 2 shown]
	ds_read_u16 v83, v54 offset:3060
	ds_read_u16 v80, v54 offset:3240
	;; [unrolled: 1-line block ×9, first 2 shown]
	ds_read_u16 v76, v59
	ds_read_u16 v77, v58
	ds_read_u16 v79, v54 offset:5220
	s_waitcnt lgkmcnt(0)
	s_barrier
	buffer_gl0_inv
	ds_write_b16 v9, v89
	ds_write_b16 v9, v90 offset:60
	ds_write_b16 v9, v92 offset:120
	ds_write_b16 v9, v93 offset:180
	ds_write_b16 v9, v100 offset:240
	ds_write_b16 v9, v14 offset:300
	ds_write_b16 v9, v87 offset:360
	ds_write_b16 v9, v88 offset:420
	ds_write_b16 v9, v94 offset:480
	ds_write_b16 v9, v99 offset:540
	ds_write_b16 v5, v108
	ds_write_b16 v5, v109 offset:60
	ds_write_b16 v5, v110 offset:120
	;; [unrolled: 1-line block ×9, first 2 shown]
	ds_write_b16 v12, v120
	v_lshlrev_b64 v[8:9], 2, v[2:3]
	v_mov_b32_e32 v5, v3
	v_subrev_nc_u32_e32 v10, 30, v41
	ds_write_b16 v12, v121 offset:60
	ds_write_b16 v12, v123 offset:120
	;; [unrolled: 1-line block ×8, first 2 shown]
	v_mov_b32_e32 v7, v3
	v_add_co_u32 v8, s0, s8, v8
	v_add_co_ci_u32_e64 v9, s0, s9, v9, s0
	v_cmp_gt_u32_e64 s0, 30, v41
	v_lshlrev_b64 v[4:5], 2, v[4:5]
	v_lshlrev_b64 v[6:7], 2, v[6:7]
	ds_write_b16 v12, v16 offset:540
	s_waitcnt lgkmcnt(0)
	v_cndmask_b32_e64 v10, v10, v44, s0
	s_barrier
	buffer_gl0_inv
	global_load_dwordx2 v[12:13], v[8:9], off offset:1188
	v_add_co_u32 v4, s0, s8, v4
	v_lshlrev_b32_e32 v10, 1, v10
	v_mov_b32_e32 v11, v3
	v_add_co_ci_u32_e64 v5, s0, s9, v5, s0
	v_add_co_u32 v6, s0, s8, v6
	v_add_nc_u32_e32 v87, 0x78, v2
	v_mov_b32_e32 v88, v3
	v_add_co_ci_u32_e64 v7, s0, s9, v7, s0
	v_lshlrev_b64 v[18:19], 2, v[10:11]
	v_lshrrev_b16 v11, 2, v47
	v_lshlrev_b64 v[87:88], 2, v[87:88]
	v_mov_b32_e32 v94, 0x6d3b
	s_clause 0x1
	global_load_dwordx2 v[16:17], v[4:5], off offset:1188
	global_load_dwordx2 v[14:15], v[6:7], off offset:1188
	v_add_nc_u32_e32 v2, 0x12c, v2
	v_add_co_u32 v18, s0, s8, v18
	v_add_co_ci_u32_e64 v19, s0, s9, v19, s0
	v_lshrrev_b16 v99, 2, v48
	v_mul_u32_u24_sdwa v11, v11, v94 dst_sel:DWORD dst_unused:UNUSED_PAD src0_sel:WORD_0 src1_sel:DWORD
	v_add_co_u32 v87, s0, s8, v87
	v_lshlrev_b64 v[89:90], 2, v[2:3]
	v_add_co_ci_u32_e64 v88, s0, s9, v88, s0
	global_load_dwordx2 v[18:19], v[18:19], off offset:1188
	v_mul_u32_u24_sdwa v99, v99, v94 dst_sel:DWORD dst_unused:UNUSED_PAD src0_sel:WORD_0 src1_sel:DWORD
	v_lshrrev_b32_e32 v2, 21, v11
	global_load_dwordx2 v[92:93], v[87:88], off offset:1188
	v_add_co_u32 v87, s0, s8, v89
	v_add_co_ci_u32_e64 v88, s0, s9, v90, s0
	v_lshrrev_b32_e32 v11, 21, v99
	v_lshrrev_b16 v99, 2, v49
	v_mul_lo_u16 v100, 0x12c, v2
	global_load_dwordx2 v[89:90], v[87:88], off offset:1188
	v_mov_b32_e32 v88, 3
	v_mul_lo_u16 v11, 0x12c, v11
	v_mul_u32_u24_sdwa v87, v99, v94 dst_sel:DWORD dst_unused:UNUSED_PAD src0_sel:WORD_0 src1_sel:DWORD
	v_sub_nc_u16 v113, v47, v100
	v_lshrrev_b16 v99, 2, v50
	v_cmp_lt_u32_e64 s0, 29, v41
	v_sub_nc_u16 v11, v48, v11
	v_lshrrev_b32_e32 v87, 21, v87
	v_lshlrev_b32_sdwa v88, v88, v113 dst_sel:DWORD dst_unused:UNUSED_PAD src0_sel:DWORD src1_sel:WORD_0
	v_mul_u32_u24_sdwa v94, v99, v94 dst_sel:DWORD dst_unused:UNUSED_PAD src0_sel:WORD_0 src1_sel:DWORD
	v_mul_u32_u24_e32 v2, 0x708, v2
	v_and_b32_e32 v11, 0xffff, v11
	v_mul_lo_u16 v87, 0x12c, v87
	global_load_dwordx2 v[99:100], v88, s[8:9] offset:1188
	v_lshrrev_b32_e32 v88, 21, v94
	v_lshlrev_b32_e32 v94, 3, v11
	v_sub_nc_u16 v87, v49, v87
	v_mul_lo_u16 v88, 0x12c, v88
	global_load_dwordx2 v[107:108], v94, s[8:9] offset:1188
	v_and_b32_e32 v87, 0xffff, v87
	v_sub_nc_u16 v88, v50, v88
	v_lshlrev_b32_e32 v94, 3, v87
	v_and_b32_e32 v88, 0xffff, v88
	global_load_dwordx2 v[109:110], v94, s[8:9] offset:1188
	v_lshlrev_b32_e32 v94, 3, v88
	global_load_dwordx2 v[111:112], v94, s[8:9] offset:1188
	ds_read_u16 v94, v54 offset:1800
	ds_read_u16 v114, v54 offset:3600
	;; [unrolled: 1-line block ×9, first 2 shown]
	ds_read_u16 v122, v54
	ds_read_u16 v125, v54 offset:3960
	ds_read_u16 v126, v54 offset:4140
	;; [unrolled: 1-line block ×4, first 2 shown]
	s_waitcnt vmcnt(9) lgkmcnt(13)
	v_mul_f16_sdwa v123, v94, v12 dst_sel:DWORD dst_unused:UNUSED_PAD src0_sel:DWORD src1_sel:WORD_1
	v_mul_f16_sdwa v124, v104, v12 dst_sel:DWORD dst_unused:UNUSED_PAD src0_sel:DWORD src1_sel:WORD_1
	s_waitcnt lgkmcnt(12)
	v_mul_f16_sdwa v129, v114, v13 dst_sel:DWORD dst_unused:UNUSED_PAD src0_sel:DWORD src1_sel:WORD_1
	v_fma_f16 v104, v104, v12, -v123
	v_mul_f16_sdwa v123, v106, v13 dst_sel:DWORD dst_unused:UNUSED_PAD src0_sel:DWORD src1_sel:WORD_1
	v_fmac_f16_e32 v124, v94, v12
	v_fma_f16 v12, v106, v13, -v129
	v_fmac_f16_e32 v123, v114, v13
	s_waitcnt vmcnt(8) lgkmcnt(11)
	v_mul_f16_sdwa v94, v115, v16 dst_sel:DWORD dst_unused:UNUSED_PAD src0_sel:DWORD src1_sel:WORD_1
	v_mul_f16_sdwa v106, v103, v16 dst_sel:DWORD dst_unused:UNUSED_PAD src0_sel:DWORD src1_sel:WORD_1
	s_waitcnt lgkmcnt(10)
	v_mul_f16_sdwa v13, v116, v17 dst_sel:DWORD dst_unused:UNUSED_PAD src0_sel:DWORD src1_sel:WORD_1
	v_mul_f16_sdwa v114, v105, v17 dst_sel:DWORD dst_unused:UNUSED_PAD src0_sel:DWORD src1_sel:WORD_1
	v_fma_f16 v94, v103, v16, -v94
	v_fmac_f16_e32 v106, v115, v16
	s_waitcnt vmcnt(7) lgkmcnt(9)
	v_mul_f16_sdwa v16, v117, v14 dst_sel:DWORD dst_unused:UNUSED_PAD src0_sel:DWORD src1_sel:WORD_1
	v_fma_f16 v13, v105, v17, -v13
	v_fmac_f16_e32 v114, v116, v17
	v_mul_f16_sdwa v17, v102, v14 dst_sel:DWORD dst_unused:UNUSED_PAD src0_sel:DWORD src1_sel:WORD_1
	s_waitcnt lgkmcnt(3)
	v_mul_f16_sdwa v103, v125, v15 dst_sel:DWORD dst_unused:UNUSED_PAD src0_sel:DWORD src1_sel:WORD_1
	v_fma_f16 v16, v102, v14, -v16
	v_mul_f16_sdwa v102, v97, v15 dst_sel:DWORD dst_unused:UNUSED_PAD src0_sel:DWORD src1_sel:WORD_1
	s_waitcnt vmcnt(6)
	v_mul_f16_sdwa v105, v118, v18 dst_sel:DWORD dst_unused:UNUSED_PAD src0_sel:DWORD src1_sel:WORD_1
	v_fmac_f16_e32 v17, v117, v14
	v_fma_f16 v14, v97, v15, -v103
	v_mul_f16_sdwa v97, v101, v18 dst_sel:DWORD dst_unused:UNUSED_PAD src0_sel:DWORD src1_sel:WORD_1
	v_fmac_f16_e32 v102, v125, v15
	v_fma_f16 v15, v101, v18, -v105
	s_waitcnt vmcnt(5)
	v_mul_f16_sdwa v105, v98, v92 dst_sel:DWORD dst_unused:UNUSED_PAD src0_sel:DWORD src1_sel:WORD_1
	ds_read_u16 v115, v54 offset:4500
	v_fmac_f16_e32 v97, v118, v18
	v_mul_f16_sdwa v18, v119, v92 dst_sel:DWORD dst_unused:UNUSED_PAD src0_sel:DWORD src1_sel:WORD_1
	s_waitcnt lgkmcnt(3)
	v_mul_f16_sdwa v101, v126, v19 dst_sel:DWORD dst_unused:UNUSED_PAD src0_sel:DWORD src1_sel:WORD_1
	v_mul_f16_sdwa v103, v95, v19 dst_sel:DWORD dst_unused:UNUSED_PAD src0_sel:DWORD src1_sel:WORD_1
	v_fmac_f16_e32 v105, v119, v92
	s_waitcnt vmcnt(4)
	v_mul_f16_sdwa v117, v96, v89 dst_sel:DWORD dst_unused:UNUSED_PAD src0_sel:DWORD src1_sel:WORD_1
	v_fma_f16 v18, v98, v92, -v18
	ds_read_u16 v92, v54 offset:4680
	v_fma_f16 v95, v95, v19, -v101
	s_waitcnt lgkmcnt(3)
	v_mul_f16_sdwa v101, v127, v93 dst_sel:DWORD dst_unused:UNUSED_PAD src0_sel:DWORD src1_sel:WORD_1
	v_fmac_f16_e32 v103, v126, v19
	v_mul_f16_sdwa v19, v91, v93 dst_sel:DWORD dst_unused:UNUSED_PAD src0_sel:DWORD src1_sel:WORD_1
	v_mul_f16_sdwa v98, v120, v89 dst_sel:DWORD dst_unused:UNUSED_PAD src0_sel:DWORD src1_sel:WORD_1
	v_mul_f16_sdwa v129, v86, v90 dst_sel:DWORD dst_unused:UNUSED_PAD src0_sel:DWORD src1_sel:WORD_1
	v_fma_f16 v91, v91, v93, -v101
	ds_read_u16 v101, v54 offset:3060
	ds_read_u16 v116, v64
	v_fmac_f16_e32 v19, v127, v93
	v_fma_f16 v93, v96, v89, -v98
	ds_read_u16 v96, v54 offset:4860
	ds_read_u16 v98, v54 offset:5040
	;; [unrolled: 1-line block ×3, first 2 shown]
	ds_read_u16 v119, v59
	ds_read_u16 v125, v58
	ds_read_u16 v127, v54 offset:3240
	s_waitcnt lgkmcnt(9)
	v_mul_f16_sdwa v126, v115, v90 dst_sel:DWORD dst_unused:UNUSED_PAD src0_sel:DWORD src1_sel:WORD_1
	s_waitcnt vmcnt(3)
	v_mul_f16_sdwa v130, v121, v99 dst_sel:DWORD dst_unused:UNUSED_PAD src0_sel:DWORD src1_sel:WORD_1
	v_fmac_f16_e32 v117, v120, v89
	v_mul_f16_sdwa v89, v81, v99 dst_sel:DWORD dst_unused:UNUSED_PAD src0_sel:DWORD src1_sel:WORD_1
	v_fmac_f16_e32 v129, v115, v90
	v_fma_f16 v86, v86, v90, -v126
	v_fma_f16 v81, v81, v99, -v130
	s_waitcnt lgkmcnt(8)
	v_mul_f16_sdwa v90, v92, v100 dst_sel:DWORD dst_unused:UNUSED_PAD src0_sel:DWORD src1_sel:WORD_1
	v_fmac_f16_e32 v89, v121, v99
	v_mul_f16_sdwa v99, v85, v100 dst_sel:DWORD dst_unused:UNUSED_PAD src0_sel:DWORD src1_sel:WORD_1
	s_waitcnt vmcnt(2)
	v_mul_f16_sdwa v120, v83, v107 dst_sel:DWORD dst_unused:UNUSED_PAD src0_sel:DWORD src1_sel:WORD_1
	v_sub_f16_e32 v121, v117, v129
	v_fma_f16 v85, v85, v100, -v90
	s_waitcnt lgkmcnt(7)
	v_mul_f16_sdwa v115, v101, v107 dst_sel:DWORD dst_unused:UNUSED_PAD src0_sel:DWORD src1_sel:WORD_1
	s_waitcnt lgkmcnt(5)
	v_mul_f16_sdwa v90, v96, v108 dst_sel:DWORD dst_unused:UNUSED_PAD src0_sel:DWORD src1_sel:WORD_1
	v_fmac_f16_e32 v99, v92, v100
	v_fmac_f16_e32 v120, v101, v107
	v_mul_f16_sdwa v92, v84, v108 dst_sel:DWORD dst_unused:UNUSED_PAD src0_sel:DWORD src1_sel:WORD_1
	v_fma_f16 v83, v83, v107, -v115
	v_fma_f16 v84, v84, v108, -v90
	s_waitcnt vmcnt(1) lgkmcnt(0)
	v_mul_f16_sdwa v90, v127, v109 dst_sel:DWORD dst_unused:UNUSED_PAD src0_sel:DWORD src1_sel:WORD_1
	v_mul_f16_sdwa v107, v82, v110 dst_sel:DWORD dst_unused:UNUSED_PAD src0_sel:DWORD src1_sel:WORD_1
	;; [unrolled: 1-line block ×4, first 2 shown]
	v_fmac_f16_e32 v92, v96, v108
	v_fma_f16 v80, v80, v109, -v90
	v_fmac_f16_e32 v107, v98, v110
	s_waitcnt vmcnt(0)
	v_mul_f16_sdwa v90, v128, v111 dst_sel:DWORD dst_unused:UNUSED_PAD src0_sel:DWORD src1_sel:WORD_1
	v_mul_f16_sdwa v98, v118, v112 dst_sel:DWORD dst_unused:UNUSED_PAD src0_sel:DWORD src1_sel:WORD_1
	v_cndmask_b32_e64 v108, 0, 0x708, s0
	v_fma_f16 v82, v82, v110, -v101
	v_mul_f16_sdwa v96, v78, v111 dst_sel:DWORD dst_unused:UNUSED_PAD src0_sel:DWORD src1_sel:WORD_1
	v_mul_f16_sdwa v101, v79, v112 dst_sel:DWORD dst_unused:UNUSED_PAD src0_sel:DWORD src1_sel:WORD_1
	v_fma_f16 v78, v78, v111, -v90
	v_fma_f16 v79, v79, v112, -v98
	v_add_f16_e32 v90, v104, v12
	v_add3_u32 v98, 0, v108, v10
	v_lshlrev_b32_sdwa v10, v63, v113 dst_sel:DWORD dst_unused:UNUSED_PAD src0_sel:DWORD src1_sel:WORD_0
	v_add_f16_e32 v63, v124, v123
	v_add_f16_e32 v108, v74, v104
	v_fmac_f16_e32 v100, v127, v109
	v_fmac_f16_e32 v74, -0.5, v90
	v_sub_f16_e32 v90, v124, v123
	v_add_f16_e32 v109, v122, v124
	v_fmac_f16_e32 v122, -0.5, v63
	v_add_f16_e32 v63, v108, v12
	v_sub_f16_e32 v12, v104, v12
	v_fmamk_f16 v104, v90, 0x3aee, v74
	v_fmac_f16_e32 v74, 0xbaee, v90
	v_add_f16_e32 v90, v109, v123
	v_add_f16_e32 v108, v94, v13
	v_fmamk_f16 v109, v12, 0xbaee, v122
	v_fmac_f16_e32 v122, 0x3aee, v12
	v_add_f16_e32 v12, v106, v114
	v_add_f16_e32 v110, v77, v94
	v_fmac_f16_e32 v96, v128, v111
	v_fmac_f16_e32 v77, -0.5, v108
	v_sub_f16_e32 v108, v106, v114
	v_add_f16_e32 v106, v125, v106
	v_fmac_f16_e32 v125, -0.5, v12
	v_sub_f16_e32 v12, v94, v13
	v_add_f16_e32 v13, v110, v13
	v_add_f16_e32 v110, v16, v14
	ds_read_u16 v111, v62
	v_fmac_f16_e32 v101, v118, v112
	v_fmamk_f16 v94, v108, 0x3aee, v77
	v_fmac_f16_e32 v77, 0xbaee, v108
	v_fmamk_f16 v108, v12, 0xbaee, v125
	v_fmac_f16_e32 v125, 0x3aee, v12
	v_add_f16_e32 v12, v17, v102
	v_add_f16_e32 v112, v76, v16
	v_fmac_f16_e32 v76, -0.5, v110
	v_sub_f16_e32 v110, v17, v102
	v_add_f16_e32 v17, v119, v17
	v_fmac_f16_e32 v119, -0.5, v12
	v_add_f16_e32 v12, v112, v14
	v_sub_f16_e32 v14, v16, v14
	v_fmamk_f16 v16, v110, 0x3aee, v76
	v_fmac_f16_e32 v76, 0xbaee, v110
	v_add_f16_e32 v110, v15, v95
	v_add_f16_e32 v106, v106, v114
	;; [unrolled: 1-line block ×3, first 2 shown]
	v_fmamk_f16 v112, v14, 0xbaee, v119
	v_fmac_f16_e32 v119, 0x3aee, v14
	v_add_f16_e32 v14, v75, v15
	v_fmac_f16_e32 v75, -0.5, v110
	v_add_f16_e32 v17, v97, v103
	v_sub_f16_e32 v114, v97, v103
	ds_read_u16 v110, v60
	ds_read_u16 v113, v61
	s_waitcnt lgkmcnt(2)
	v_add_f16_e32 v97, v111, v97
	v_sub_f16_e32 v15, v15, v95
	v_fmac_f16_e32 v111, -0.5, v17
	v_fmamk_f16 v17, v114, 0x3aee, v75
	v_fmac_f16_e32 v75, 0xbaee, v114
	ds_read_u16 v114, v65
	v_add_f16_e32 v14, v14, v95
	v_add_f16_e32 v95, v97, v103
	;; [unrolled: 1-line block ×3, first 2 shown]
	v_fmamk_f16 v97, v15, 0xbaee, v111
	v_fmac_f16_e32 v111, 0x3aee, v15
	v_add_f16_e32 v15, v105, v19
	v_add_f16_e32 v115, v68, v18
	v_fmac_f16_e32 v68, -0.5, v103
	v_sub_f16_e32 v103, v105, v19
	v_add_f16_e32 v105, v116, v105
	v_fmac_f16_e32 v116, -0.5, v15
	v_add_f16_e32 v15, v115, v91
	v_sub_f16_e32 v18, v18, v91
	v_fmamk_f16 v91, v103, 0x3aee, v68
	v_fmac_f16_e32 v68, 0xbaee, v103
	v_add_f16_e32 v103, v93, v86
	v_add_f16_e32 v105, v105, v19
	;; [unrolled: 1-line block ×3, first 2 shown]
	v_fmamk_f16 v115, v18, 0xbaee, v116
	s_waitcnt lgkmcnt(0)
	v_add_f16_e32 v117, v114, v117
	v_fmac_f16_e32 v116, 0x3aee, v18
	v_add_f16_e32 v18, v72, v93
	v_fmac_f16_e32 v72, -0.5, v103
	v_fmac_f16_e32 v114, -0.5, v19
	v_sub_f16_e32 v19, v93, v86
	ds_read_u16 v103, v66
	ds_read_u16 v118, v67
	v_add_f16_e32 v93, v117, v129
	v_add_f16_e32 v117, v81, v85
	;; [unrolled: 1-line block ×3, first 2 shown]
	v_fmamk_f16 v86, v121, 0x3aee, v72
	v_fmac_f16_e32 v72, 0xbaee, v121
	v_fmamk_f16 v121, v19, 0xbaee, v114
	v_fmac_f16_e32 v114, 0x3aee, v19
	v_add_f16_e32 v19, v89, v99
	v_add_f16_e32 v123, v73, v81
	v_fmac_f16_e32 v73, -0.5, v117
	v_sub_f16_e32 v117, v89, v99
	v_add_f16_e32 v89, v110, v89
	v_fmac_f16_e32 v110, -0.5, v19
	v_sub_f16_e32 v81, v81, v85
	v_add_f16_e32 v19, v123, v85
	v_fmamk_f16 v85, v117, 0x3aee, v73
	v_add_f16_e32 v89, v89, v99
	v_add_f16_e32 v99, v83, v84
	v_fmac_f16_e32 v73, 0xbaee, v117
	v_fmamk_f16 v117, v81, 0xbaee, v110
	v_fmac_f16_e32 v110, 0x3aee, v81
	v_add_f16_e32 v81, v120, v92
	v_add_f16_e32 v123, v70, v83
	v_fmac_f16_e32 v70, -0.5, v99
	v_sub_f16_e32 v99, v120, v92
	s_waitcnt lgkmcnt(1)
	v_add_f16_e32 v120, v103, v120
	v_fmac_f16_e32 v103, -0.5, v81
	v_sub_f16_e32 v83, v83, v84
	v_add_f16_e32 v81, v123, v84
	v_fmamk_f16 v84, v99, 0x3aee, v70
	v_fmac_f16_e32 v70, 0xbaee, v99
	v_add_f16_e32 v99, v80, v82
	v_add_f16_e32 v92, v120, v92
	v_fmamk_f16 v120, v83, 0xbaee, v103
	v_fmac_f16_e32 v103, 0x3aee, v83
	v_add_f16_e32 v83, v100, v107
	v_add_f16_e32 v123, v71, v80
	v_fmac_f16_e32 v71, -0.5, v99
	v_sub_f16_e32 v99, v100, v107
	s_waitcnt lgkmcnt(0)
	v_add_f16_e32 v100, v118, v100
	v_fmac_f16_e32 v118, -0.5, v83
	v_sub_f16_e32 v80, v80, v82
	v_add_f16_e32 v83, v123, v82
	v_fmamk_f16 v82, v99, 0x3aee, v71
	v_fmac_f16_e32 v71, 0xbaee, v99
	v_add_f16_e32 v99, v100, v107
	v_add_f16_e32 v100, v78, v79
	v_fmamk_f16 v107, v80, 0xbaee, v118
	v_fmac_f16_e32 v118, 0x3aee, v80
	v_add_f16_e32 v80, v96, v101
	v_add3_u32 v2, 0, v2, v10
	v_add_f16_e32 v123, v69, v78
	v_fmac_f16_e32 v69, -0.5, v100
	v_sub_f16_e32 v100, v96, v101
	s_barrier
	buffer_gl0_inv
	ds_write_b16 v54, v63
	ds_write_b16 v54, v104 offset:600
	ds_write_b16 v54, v74 offset:1200
	ds_write_b16 v58, v13
	ds_write_b16 v58, v94 offset:600
	ds_write_b16 v58, v77 offset:1200
	ds_write_b16 v59, v12
	ds_write_b16 v59, v16 offset:600
	ds_write_b16 v59, v76 offset:1200
	ds_write_b16 v98, v14
	ds_write_b16 v98, v17 offset:600
	ds_write_b16 v98, v75 offset:1200
	ds_write_b16 v54, v15 offset:1920
	ds_write_b16 v54, v91 offset:2520
	;; [unrolled: 1-line block ×6, first 2 shown]
	v_lshl_add_u32 v86, v11, 1, 0
	v_add_f16_e32 v96, v113, v96
	v_fmac_f16_e32 v113, -0.5, v80
	v_sub_f16_e32 v78, v78, v79
	ds_write_b16 v2, v19
	ds_write_b16 v2, v85 offset:600
	ds_write_b16 v2, v73 offset:1200
	v_lshl_add_u32 v85, v87, 1, 0
	v_add_f16_e32 v79, v123, v79
	v_fmamk_f16 v80, v100, 0x3aee, v69
	v_fmac_f16_e32 v69, 0xbaee, v100
	ds_write_b16 v86, v81 offset:3600
	ds_write_b16 v86, v84 offset:4200
	v_lshl_add_u32 v84, v88, 1, 0
	v_fmamk_f16 v100, v78, 0xbaee, v113
	v_fmac_f16_e32 v113, 0x3aee, v78
	ds_write_b16 v86, v70 offset:4800
	ds_write_b16 v85, v83 offset:3600
	;; [unrolled: 1-line block ×7, first 2 shown]
	s_waitcnt lgkmcnt(0)
	s_barrier
	buffer_gl0_inv
	ds_read_u16 v10, v64
	ds_read_u16 v78, v54 offset:3960
	ds_read_u16 v11, v54 offset:4140
	;; [unrolled: 1-line block ×3, first 2 shown]
	ds_read_u16 v73, v54
	ds_read_u16 v76, v54 offset:1800
	ds_read_u16 v79, v54 offset:1980
	;; [unrolled: 1-line block ×7, first 2 shown]
	ds_read_u16 v15, v65
	ds_read_u16 v19, v66
	;; [unrolled: 1-line block ×6, first 2 shown]
	ds_read_u16 v68, v54 offset:3060
	ds_read_u16 v71, v54 offset:3240
	;; [unrolled: 1-line block ×9, first 2 shown]
	ds_read_u16 v80, v59
	ds_read_u16 v77, v58
	ds_read_u16 v75, v54 offset:5220
	v_add_f16_e32 v96, v96, v101
	s_waitcnt lgkmcnt(0)
	s_barrier
	buffer_gl0_inv
	ds_write_b16 v54, v90
	ds_write_b16 v54, v109 offset:600
	ds_write_b16 v54, v122 offset:1200
	ds_write_b16 v58, v106
	ds_write_b16 v58, v108 offset:600
	ds_write_b16 v58, v125 offset:1200
	;; [unrolled: 3-line block ×4, first 2 shown]
	ds_write_b16 v54, v105 offset:1920
	ds_write_b16 v54, v115 offset:2520
	;; [unrolled: 1-line block ×6, first 2 shown]
	ds_write_b16 v2, v89
	ds_write_b16 v2, v117 offset:600
	ds_write_b16 v2, v110 offset:1200
	;; [unrolled: 1-line block ×11, first 2 shown]
	s_waitcnt lgkmcnt(0)
	s_barrier
	buffer_gl0_inv
	s_and_saveexec_b32 s0, vcc_lo
	s_cbranch_execz .LBB0_15
; %bb.14:
	v_lshlrev_b32_e32 v2, 1, v50
	v_add_co_u32 v6, vcc_lo, 0x800, v6
	v_add_co_ci_u32_e32 v7, vcc_lo, 0, v7, vcc_lo
	v_add_co_u32 v4, vcc_lo, 0x800, v4
	v_lshlrev_b64 v[84:85], 2, v[2:3]
	v_add_co_ci_u32_e32 v5, vcc_lo, 0, v5, vcc_lo
	v_add_co_u32 v8, vcc_lo, 0x800, v8
	v_add_co_ci_u32_e32 v9, vcc_lo, 0, v9, vcc_lo
	v_add_co_u32 v2, vcc_lo, s8, v84
	v_add_co_ci_u32_e32 v50, vcc_lo, s9, v85, vcc_lo
	global_load_dwordx2 v[6:7], v[6:7], off offset:1540
	v_add_co_u32 v84, vcc_lo, 0x800, v2
	v_add_co_ci_u32_e32 v85, vcc_lo, 0, v50, vcc_lo
	v_lshlrev_b32_e32 v2, 1, v49
	s_clause 0x1
	global_load_dwordx2 v[4:5], v[4:5], off offset:1540
	global_load_dwordx2 v[8:9], v[8:9], off offset:1540
	v_sub_nc_u32_e32 v92, 0, v56
	global_load_dwordx2 v[49:50], v[84:85], off offset:1540
	v_sub_nc_u32_e32 v93, 0, v55
	v_lshlrev_b64 v[84:85], 2, v[2:3]
	v_add_nc_u32_e32 v52, v52, v92
	v_add_nc_u32_e32 v53, v53, v93
	v_add_co_u32 v2, vcc_lo, s8, v84
	v_add_co_ci_u32_e32 v85, vcc_lo, s9, v85, vcc_lo
	v_add_co_u32 v84, vcc_lo, 0x800, v2
	v_lshlrev_b32_e32 v2, 1, v48
	v_add_co_ci_u32_e32 v85, vcc_lo, 0, v85, vcc_lo
	v_lshlrev_b64 v[86:87], 2, v[2:3]
	v_lshlrev_b32_e32 v2, 1, v47
	global_load_dwordx2 v[84:85], v[84:85], off offset:1540
	v_add_co_u32 v48, vcc_lo, s8, v86
	v_add_co_ci_u32_e32 v86, vcc_lo, s9, v87, vcc_lo
	v_add_co_u32 v47, vcc_lo, 0x800, v48
	v_add_co_ci_u32_e32 v48, vcc_lo, 0, v86, vcc_lo
	v_lshlrev_b64 v[86:87], 2, v[2:3]
	global_load_dwordx2 v[47:48], v[47:48], off offset:1540
	v_add_co_u32 v2, vcc_lo, s8, v86
	v_add_co_ci_u32_e32 v87, vcc_lo, s9, v87, vcc_lo
	v_add_co_u32 v86, vcc_lo, 0x800, v2
	v_lshlrev_b32_e32 v2, 1, v46
	v_add_co_ci_u32_e32 v87, vcc_lo, 0, v87, vcc_lo
	v_lshlrev_b64 v[88:89], 2, v[2:3]
	global_load_dwordx2 v[86:87], v[86:87], off offset:1540
	v_add_co_u32 v2, vcc_lo, s8, v88
	v_add_co_ci_u32_e32 v46, vcc_lo, s9, v89, vcc_lo
	v_add_co_u32 v88, vcc_lo, 0x800, v2
	v_lshlrev_b32_e32 v2, 1, v45
	;; [unrolled: 7-line block ×3, first 2 shown]
	v_add_co_ci_u32_e32 v46, vcc_lo, 0, v46, vcc_lo
	v_sub_nc_u32_e32 v44, 0, v57
	v_lshlrev_b64 v[2:3], 2, v[2:3]
	global_load_dwordx2 v[45:46], v[45:46], off offset:1540
	v_add_nc_u32_e32 v51, v51, v44
	v_add_co_u32 v2, vcc_lo, s8, v2
	v_add_co_ci_u32_e32 v3, vcc_lo, s9, v3, vcc_lo
	v_add_co_u32 v2, vcc_lo, 0x800, v2
	v_add_co_ci_u32_e32 v3, vcc_lo, 0, v3, vcc_lo
	;; [unrolled: 2-line block ×3, first 2 shown]
	global_load_dwordx2 v[90:91], v[2:3], off offset:1540
	v_mad_u64_u32 v[2:3], null, s2, v41, 0
	ds_read_u16 v94, v54 offset:4320
	ds_read_u16 v95, v54 offset:4140
	;; [unrolled: 1-line block ×8, first 2 shown]
	ds_read_u16 v102, v64
	ds_read_u16 v59, v59
	;; [unrolled: 1-line block ×3, first 2 shown]
	ds_read_u16 v104, v54 offset:5220
	ds_read_u16 v105, v54 offset:5040
	ds_read_u16 v106, v54 offset:4860
	ds_read_u16 v107, v54 offset:4680
	ds_read_u16 v108, v54 offset:4500
	ds_read_u16 v67, v67
	ds_read_u16 v66, v66
	;; [unrolled: 1-line block ×3, first 2 shown]
	ds_read_u16 v110, v54 offset:2880
	ds_read_u16 v111, v54 offset:2700
	;; [unrolled: 1-line block ×7, first 2 shown]
	ds_read_u16 v117, v54
	v_mad_u64_u32 v[54:55], null, s2, v43, 0
	v_mad_u64_u32 v[64:65], null, s2, v38, 0
	s_waitcnt vmcnt(8)
	v_mad_u64_u32 v[56:57], null, s3, v41, v[3:4]
	v_mad_u64_u32 v[57:58], null, s2, v42, 0
	v_mov_b32_e32 v41, v55
	v_lshrrev_b32_e32 v92, 16, v5
	s_waitcnt lgkmcnt(2)
	v_mul_f16_e32 v93, v4, v115
	v_mul_f16_e32 v118, v5, v97
	v_mov_b32_e32 v3, v56
	v_mad_u64_u32 v[43:44], null, s3, v43, v[41:42]
	v_mov_b32_e32 v41, v58
	ds_read_u16 v44, v53
	ds_read_u16 v56, v52
	v_lshlrev_b64 v[2:3], 2, v[2:3]
	ds_read_u16 v58, v51
	s_waitcnt vmcnt(7)
	v_lshrrev_b32_e32 v119, 16, v8
	v_mad_u64_u32 v[51:52], null, s3, v42, v[41:42]
	v_mov_b32_e32 v55, v43
	v_add_co_u32 v52, vcc_lo, v0, v2
	v_add_co_ci_u32_e32 v53, vcc_lo, v1, v3, vcc_lo
	v_lshrrev_b32_e32 v2, 16, v6
	v_lshrrev_b32_e32 v3, 16, v7
	v_mul_f16_e32 v41, v6, v114
	v_mul_f16_e32 v42, v7, v96
	v_lshrrev_b32_e32 v43, 16, v4
	v_lshrrev_b32_e32 v120, 16, v9
	s_waitcnt lgkmcnt(4)
	v_mul_f16_e32 v121, v8, v116
	v_mul_f16_e32 v122, v9, v98
	;; [unrolled: 1-line block ×4, first 2 shown]
	v_fmac_f16_e32 v41, v81, v2
	v_fmac_f16_e32 v42, v78, v3
	v_mul_f16_e32 v2, v43, v115
	v_mul_f16_e32 v3, v92, v97
	v_fmac_f16_e32 v93, v79, v43
	v_fmac_f16_e32 v118, v83, v92
	v_mul_f16_e32 v43, v119, v116
	v_mul_f16_e32 v92, v120, v98
	v_fmac_f16_e32 v121, v76, v119
	v_fmac_f16_e32 v122, v82, v120
	v_fma_f16 v6, v81, v6, -v114
	v_fma_f16 v7, v78, v7, -v96
	v_add_f16_e32 v78, v41, v42
	v_add_f16_e32 v81, v41, v59
	v_fma_f16 v2, v79, v4, -v2
	v_fma_f16 v3, v83, v5, -v3
	v_add_f16_e32 v4, v93, v118
	v_add_f16_e32 v5, v93, v103
	v_fma_f16 v8, v76, v8, -v43
	v_fma_f16 v9, v82, v9, -v92
	v_add_f16_e32 v43, v121, v122
	s_waitcnt lgkmcnt(3)
	v_add_f16_e32 v76, v121, v117
	v_sub_f16_e32 v41, v41, v42
	v_sub_f16_e32 v79, v93, v118
	;; [unrolled: 1-line block ×3, first 2 shown]
	v_fma_f16 v59, -0.5, v78, v59
	v_add_f16_e32 v78, v42, v81
	v_add_f16_e32 v42, v6, v7
	;; [unrolled: 1-line block ×3, first 2 shown]
	v_sub_f16_e32 v81, v2, v3
	v_fma_f16 v92, -0.5, v4, v103
	v_add_f16_e32 v93, v118, v5
	v_add_f16_e32 v4, v2, v3
	;; [unrolled: 1-line block ×3, first 2 shown]
	v_sub_f16_e32 v5, v8, v9
	v_fma_f16 v96, -0.5, v43, v117
	v_add_f16_e32 v43, v122, v76
	v_add_f16_e32 v76, v8, v9
	;; [unrolled: 1-line block ×3, first 2 shown]
	s_waitcnt vmcnt(6)
	v_lshrrev_b32_e32 v97, 16, v49
	v_lshrrev_b32_e32 v98, 16, v50
	v_mul_f16_e32 v103, v49, v99
	v_mul_f16_e32 v114, v50, v104
	v_sub_f16_e32 v82, v121, v122
	v_fmamk_f16 v115, v83, 0x3aee, v59
	v_fmac_f16_e32 v59, 0xbaee, v83
	v_fma_f16 v80, -0.5, v42, v80
	v_add_f16_e32 v83, v6, v7
	v_fmamk_f16 v116, v81, 0x3aee, v92
	v_fmac_f16_e32 v92, 0xbaee, v81
	v_fma_f16 v77, -0.5, v4, v77
	v_add_f16_e32 v81, v2, v3
	v_fmamk_f16 v117, v5, 0x3aee, v96
	v_fmac_f16_e32 v96, 0xbaee, v5
	v_fma_f16 v73, -0.5, v76, v73
	v_add_f16_e32 v2, v8, v9
	v_mul_f16_e32 v3, v97, v99
	v_mul_f16_e32 v4, v98, v104
	v_fmac_f16_e32 v103, v74, v97
	v_fmac_f16_e32 v114, v75, v98
	s_waitcnt vmcnt(5)
	v_lshrrev_b32_e32 v5, 16, v84
	v_lshrrev_b32_e32 v6, 16, v85
	v_mul_f16_e32 v7, v84, v100
	v_mul_f16_e32 v9, v85, v105
	v_fmamk_f16 v76, v41, 0xbaee, v80
	v_fmac_f16_e32 v80, 0x3aee, v41
	v_fmamk_f16 v97, v79, 0xbaee, v77
	v_fmac_f16_e32 v77, 0x3aee, v79
	;; [unrolled: 2-line block ×3, first 2 shown]
	v_pack_b32_f16 v82, v2, v43
	v_fma_f16 v8, v74, v49, -v3
	v_fma_f16 v41, v75, v50, -v4
	v_add_f16_e32 v2, v103, v114
	v_mul_f16_e32 v4, v5, v100
	v_mul_f16_e32 v43, v6, v105
	v_fmac_f16_e32 v7, v71, v5
	v_fmac_f16_e32 v9, v72, v6
	s_waitcnt vmcnt(4)
	v_lshrrev_b32_e32 v5, 16, v47
	v_lshrrev_b32_e32 v6, 16, v48
	v_mul_f16_e32 v49, v47, v101
	v_mul_f16_e32 v50, v48, v106
	s_waitcnt lgkmcnt(2)
	v_add_f16_e32 v3, v103, v44
	v_sub_f16_e32 v74, v8, v41
	v_fma_f16 v2, -0.5, v2, v44
	v_add_f16_e32 v44, v8, v41
	v_add_f16_e32 v8, v70, v8
	v_fma_f16 v71, v71, v84, -v4
	v_fma_f16 v72, v72, v85, -v43
	v_add_f16_e32 v43, v7, v9
	v_add_f16_e32 v75, v7, v67
	v_sub_f16_e32 v84, v7, v9
	v_mul_f16_e32 v7, v5, v101
	v_mul_f16_e32 v85, v6, v106
	v_fmac_f16_e32 v49, v68, v5
	v_fmac_f16_e32 v50, v69, v6
	s_waitcnt vmcnt(3)
	v_lshrrev_b32_e32 v98, 16, v86
	v_lshrrev_b32_e32 v99, 16, v87
	v_mul_f16_e32 v100, v86, v110
	v_mul_f16_e32 v101, v87, v107
	v_fmamk_f16 v4, v74, 0x3aee, v2
	v_fmac_f16_e32 v2, 0xbaee, v74
	v_fma_f16 v5, -0.5, v44, v70
	v_add_f16_e32 v6, v8, v41
	v_sub_f16_e32 v41, v71, v72
	v_fma_f16 v8, -0.5, v43, v67
	v_add_f16_e32 v43, v9, v75
	v_add_f16_e32 v44, v71, v72
	;; [unrolled: 1-line block ×3, first 2 shown]
	v_fma_f16 v47, v68, v47, -v7
	v_fma_f16 v48, v69, v48, -v85
	v_add_f16_e32 v68, v49, v50
	v_add_f16_e32 v69, v49, v66
	v_mul_f16_e32 v70, v98, v110
	v_mul_f16_e32 v71, v99, v107
	v_fmac_f16_e32 v100, v63, v98
	v_fmac_f16_e32 v101, v61, v99
	s_waitcnt vmcnt(2)
	v_lshrrev_b32_e32 v74, 16, v88
	v_lshrrev_b32_e32 v75, 16, v89
	v_mul_f16_e32 v85, v88, v111
	v_mul_f16_e32 v98, v89, v108
	v_sub_f16_e32 v42, v103, v114
	v_sub_f16_e32 v49, v49, v50
	v_fmamk_f16 v9, v41, 0x3aee, v8
	v_fmac_f16_e32 v8, 0xbaee, v41
	v_fma_f16 v41, -0.5, v44, v62
	v_add_f16_e32 v44, v67, v72
	v_sub_f16_e32 v62, v47, v48
	v_fma_f16 v66, -0.5, v68, v66
	v_add_f16_e32 v50, v50, v69
	v_add_f16_e32 v67, v47, v48
	;; [unrolled: 1-line block ×3, first 2 shown]
	v_fma_f16 v63, v63, v86, -v70
	v_fma_f16 v61, v61, v87, -v71
	v_add_f16_e32 v68, v100, v101
	s_waitcnt lgkmcnt(1)
	v_add_f16_e32 v69, v100, v56
	v_mul_f16_e32 v71, v74, v111
	v_mul_f16_e32 v72, v75, v108
	v_fmac_f16_e32 v85, v18, v74
	v_fmac_f16_e32 v98, v60, v75
	s_waitcnt vmcnt(1)
	v_lshrrev_b32_e32 v74, 16, v45
	v_lshrrev_b32_e32 v75, 16, v46
	v_mul_f16_e32 v86, v45, v112
	v_mul_f16_e32 v87, v46, v94
	v_fmamk_f16 v7, v42, 0xbaee, v5
	v_fmac_f16_e32 v5, 0x3aee, v42
	v_fmamk_f16 v42, v84, 0xbaee, v41
	v_fmac_f16_e32 v41, 0x3aee, v84
	;; [unrolled: 2-line block ×3, first 2 shown]
	v_fma_f16 v62, -0.5, v67, v19
	v_add_f16_e32 v47, v47, v48
	v_sub_f16_e32 v19, v63, v61
	v_fma_f16 v48, -0.5, v68, v56
	v_add_f16_e32 v56, v101, v69
	v_add_f16_e32 v67, v63, v61
	;; [unrolled: 1-line block ×3, first 2 shown]
	v_fma_f16 v18, v18, v88, -v71
	v_fma_f16 v60, v60, v89, -v72
	v_add_f16_e32 v68, v85, v98
	v_add_f16_e32 v69, v85, v109
	v_sub_f16_e32 v71, v85, v98
	v_mul_f16_e32 v72, v74, v112
	v_mul_f16_e32 v85, v75, v94
	v_fmac_f16_e32 v86, v16, v74
	v_fmac_f16_e32 v87, v14, v75
	s_waitcnt vmcnt(0)
	v_lshrrev_b32_e32 v74, 16, v90
	v_lshrrev_b32_e32 v75, 16, v91
	v_sub_f16_e32 v70, v100, v101
	v_mul_f16_e32 v88, v90, v113
	v_mul_f16_e32 v89, v91, v95
	v_fmamk_f16 v94, v49, 0xbaee, v62
	v_fmac_f16_e32 v62, 0x3aee, v49
	v_fmamk_f16 v49, v19, 0x3aee, v48
	v_fmac_f16_e32 v48, 0xbaee, v19
	v_fma_f16 v67, -0.5, v67, v17
	v_add_f16_e32 v61, v63, v61
	v_sub_f16_e32 v17, v18, v60
	v_fma_f16 v63, -0.5, v68, v109
	v_add_f16_e32 v19, v18, v60
	v_fma_f16 v16, v16, v45, -v72
	v_fma_f16 v14, v14, v46, -v85
	v_mul_f16_e32 v72, v74, v113
	v_mul_f16_e32 v85, v75, v95
	v_add_f16_e32 v18, v15, v18
	v_add_f16_e32 v45, v86, v87
	v_fmac_f16_e32 v88, v12, v74
	v_fmac_f16_e32 v89, v11, v75
	v_fmamk_f16 v74, v70, 0xbaee, v67
	v_fmac_f16_e32 v67, 0x3aee, v70
	v_fmamk_f16 v70, v17, 0x3aee, v63
	v_fmac_f16_e32 v63, 0xbaee, v17
	v_fma_f16 v75, -0.5, v19, v15
	v_sub_f16_e32 v15, v16, v14
	v_add_f16_e32 v17, v16, v14
	v_add_f16_e32 v16, v10, v16
	v_fma_f16 v12, v12, v90, -v72
	v_fma_f16 v11, v11, v91, -v85
	v_add_f16_e32 v68, v98, v69
	v_add_f16_e32 v46, v86, v102
	v_sub_f16_e32 v69, v86, v87
	v_add_f16_e32 v60, v18, v60
	v_fma_f16 v86, -0.5, v45, v102
	v_add_f16_e32 v18, v88, v89
	s_waitcnt lgkmcnt(0)
	v_add_f16_e32 v19, v88, v58
	v_sub_f16_e32 v45, v88, v89
	v_add_f16_e32 v88, v16, v14
	v_add_f16_e32 v14, v12, v11
	v_fma_f16 v85, -0.5, v17, v10
	v_sub_f16_e32 v10, v12, v11
	v_add_f16_e32 v12, v13, v12
	v_fma_f16 v90, -0.5, v18, v58
	v_fma_f16 v95, -0.5, v14, v13
	v_mad_u64_u32 v[13:14], null, s2, v40, 0
	v_add_f16_e32 v98, v12, v11
	v_mov_b32_e32 v58, v51
	v_mov_b32_e32 v12, v65
	v_fmamk_f16 v91, v69, 0xbaee, v85
	v_fmac_f16_e32 v85, 0x3aee, v69
	v_fmamk_f16 v69, v10, 0x3aee, v90
	v_fmac_f16_e32 v90, 0xbaee, v10
	v_lshlrev_b64 v[10:11], 2, v[54:55]
	v_fmamk_f16 v72, v71, 0xbaee, v75
	v_fmac_f16_e32 v75, 0x3aee, v71
	v_fmamk_f16 v71, v15, 0x3aee, v86
	v_fmac_f16_e32 v86, 0xbaee, v15
	v_lshlrev_b64 v[15:16], 2, v[57:58]
	v_mad_u64_u32 v[17:18], null, s3, v38, v[12:13]
	v_add_co_u32 v10, vcc_lo, v0, v10
	v_mov_b32_e32 v12, v14
	v_add_co_ci_u32_e32 v11, vcc_lo, v1, v11, vcc_lo
	v_add_f16_e32 v89, v89, v19
	v_mad_u64_u32 v[18:19], null, s2, v39, 0
	v_add_co_u32 v14, vcc_lo, v0, v15
	v_add_f16_e32 v87, v87, v46
	v_fmamk_f16 v99, v45, 0xbaee, v95
	v_fmac_f16_e32 v95, 0x3aee, v45
	v_add_co_ci_u32_e32 v15, vcc_lo, v1, v16, vcc_lo
	v_mad_u64_u32 v[45:46], null, s3, v40, v[12:13]
	v_pack_b32_f16 v12, v79, v117
	v_mov_b32_e32 v65, v17
	v_pack_b32_f16 v51, v73, v96
	global_store_dword v[52:53], v82, off
	global_store_dword v[10:11], v51, off
	;; [unrolled: 1-line block ×3, first 2 shown]
	v_lshlrev_b64 v[11:12], 2, v[64:65]
	v_mov_b32_e32 v10, v19
	v_mov_b32_e32 v14, v45
	v_mad_u64_u32 v[45:46], null, s2, v36, 0
	v_pack_b32_f16 v51, v81, v93
	v_mad_u64_u32 v[15:16], null, s3, v39, v[10:11]
	v_mad_u64_u32 v[16:17], null, s2, v35, 0
	v_add_co_u32 v10, vcc_lo, v0, v11
	v_add_co_ci_u32_e32 v11, vcc_lo, v1, v12, vcc_lo
	v_lshlrev_b64 v[12:13], 2, v[13:14]
	v_mov_b32_e32 v19, v15
	v_mov_b32_e32 v14, v17
	v_mad_u64_u32 v[38:39], null, s2, v37, 0
	v_pack_b32_f16 v52, v77, v92
	v_lshlrev_b64 v[17:18], 2, v[18:19]
	v_mad_u64_u32 v[14:15], null, s3, v35, v[14:15]
	v_add_co_u32 v12, vcc_lo, v0, v12
	v_add_co_ci_u32_e32 v13, vcc_lo, v1, v13, vcc_lo
	v_mov_b32_e32 v15, v39
	v_add_co_u32 v39, vcc_lo, v0, v17
	v_mov_b32_e32 v17, v14
	global_store_dword v[10:11], v51, off
	global_store_dword v[12:13], v52, off
	v_mov_b32_e32 v10, v46
	v_add_co_ci_u32_e32 v40, vcc_lo, v1, v18, vcc_lo
	v_lshlrev_b64 v[11:12], 2, v[16:17]
	v_mad_u64_u32 v[18:19], null, s3, v37, v[15:16]
	v_pack_b32_f16 v15, v97, v116
	v_pack_b32_f16 v51, v83, v78
	;; [unrolled: 1-line block ×3, first 2 shown]
	v_mad_u64_u32 v[13:14], null, s3, v36, v[10:11]
	global_store_dword v[39:40], v15, off
	v_mad_u64_u32 v[14:15], null, s2, v32, 0
	v_add_co_u32 v10, vcc_lo, v0, v11
	v_add_co_ci_u32_e32 v11, vcc_lo, v1, v12, vcc_lo
	v_mov_b32_e32 v39, v18
	v_mad_u64_u32 v[18:19], null, s2, v34, 0
	v_mov_b32_e32 v12, v15
	v_mov_b32_e32 v46, v13
	v_lshlrev_b64 v[16:17], 2, v[38:39]
	v_mad_u64_u32 v[37:38], null, s2, v33, 0
	v_mad_u64_u32 v[12:13], null, s3, v32, v[12:13]
	v_mov_b32_e32 v13, v19
	v_lshlrev_b64 v[35:36], 2, v[45:46]
	v_add_co_u32 v16, vcc_lo, v0, v16
	v_add_co_ci_u32_e32 v17, vcc_lo, v1, v17, vcc_lo
	v_mov_b32_e32 v15, v12
	v_mad_u64_u32 v[39:40], null, s3, v34, v[13:14]
	v_add_co_u32 v35, vcc_lo, v0, v35
	global_store_dword v[10:11], v51, off
	global_store_dword v[16:17], v52, off
	v_lshlrev_b64 v[11:12], 2, v[14:15]
	v_add_co_ci_u32_e32 v36, vcc_lo, v1, v36, vcc_lo
	v_pack_b32_f16 v13, v76, v115
	v_mov_b32_e32 v10, v38
	v_mov_b32_e32 v19, v39
	v_mad_u64_u32 v[16:17], null, s2, v29, 0
	global_store_dword v[35:36], v13, off
	v_mad_u64_u32 v[13:14], null, s3, v33, v[10:11]
	v_lshlrev_b64 v[14:15], 2, v[18:19]
	v_mad_u64_u32 v[18:19], null, s2, v31, 0
	v_add_co_u32 v10, vcc_lo, v0, v11
	v_add_co_ci_u32_e32 v11, vcc_lo, v1, v12, vcc_lo
	v_mov_b32_e32 v38, v13
	v_add_co_u32 v12, vcc_lo, v0, v14
	v_mad_u64_u32 v[32:33], null, s3, v29, v[17:18]
	v_add_co_ci_u32_e32 v13, vcc_lo, v1, v15, vcc_lo
	v_lshlrev_b64 v[14:15], 2, v[37:38]
	v_mov_b32_e32 v17, v19
	v_mad_u64_u32 v[33:34], null, s2, v30, 0
	v_mul_hi_u32 v19, 0x91a2b3c5, v28
	v_pack_b32_f16 v39, v98, v89
	v_add_co_u32 v14, vcc_lo, v0, v14
	v_pack_b32_f16 v37, v95, v90
	v_mad_u64_u32 v[35:36], null, s3, v31, v[17:18]
	v_mov_b32_e32 v17, v32
	v_add_co_ci_u32_e32 v15, vcc_lo, v1, v15, vcc_lo
	v_pack_b32_f16 v38, v99, v69
	global_store_dword v[10:11], v39, off
	global_store_dword v[12:13], v37, off
	;; [unrolled: 1-line block ×3, first 2 shown]
	v_lshlrev_b64 v[11:12], 2, v[16:17]
	v_mov_b32_e32 v10, v34
	v_lshrrev_b32_e32 v15, 9, v19
	v_mov_b32_e32 v19, v35
	v_pack_b32_f16 v32, v88, v87
	v_pack_b32_f16 v36, v85, v86
	v_mad_u64_u32 v[13:14], null, s3, v30, v[10:11]
	v_mad_u32_u24 v30, 0x708, v15, v28
	v_lshlrev_b64 v[14:15], 2, v[18:19]
	v_add_co_u32 v10, vcc_lo, v0, v11
	v_add_co_ci_u32_e32 v11, vcc_lo, v1, v12, vcc_lo
	v_mad_u64_u32 v[16:17], null, s2, v30, 0
	v_mov_b32_e32 v34, v13
	v_add_nc_u32_e32 v35, 0x384, v30
	v_add_co_u32 v12, vcc_lo, v0, v14
	v_add_co_ci_u32_e32 v13, vcc_lo, v1, v15, vcc_lo
	v_mov_b32_e32 v14, v17
	v_lshlrev_b64 v[17:18], 2, v[33:34]
	v_mad_u64_u32 v[28:29], null, s2, v35, 0
	v_add_nc_u32_e32 v33, 0x708, v30
	v_mad_u64_u32 v[14:15], null, s3, v30, v[14:15]
	v_add_co_u32 v30, vcc_lo, v0, v17
	v_add_co_ci_u32_e32 v31, vcc_lo, v1, v18, vcc_lo
	v_mad_u64_u32 v[18:19], null, s2, v33, 0
	v_mov_b32_e32 v15, v29
	v_mov_b32_e32 v17, v14
	v_pack_b32_f16 v34, v91, v71
	global_store_dword v[10:11], v32, off
	global_store_dword v[12:13], v36, off
	;; [unrolled: 1-line block ×3, first 2 shown]
	v_mad_u64_u32 v[14:15], null, s3, v35, v[15:16]
	v_lshlrev_b64 v[10:11], 2, v[16:17]
	v_mov_b32_e32 v12, v19
	v_mad_u64_u32 v[15:16], null, s2, v25, 0
	v_mad_u64_u32 v[30:31], null, s2, v26, 0
	;; [unrolled: 1-line block ×3, first 2 shown]
	v_mov_b32_e32 v29, v14
	v_add_co_u32 v10, vcc_lo, v0, v10
	v_mov_b32_e32 v13, v16
	v_add_co_ci_u32_e32 v11, vcc_lo, v1, v11, vcc_lo
	v_mov_b32_e32 v19, v12
	v_lshlrev_b64 v[16:17], 2, v[28:29]
	v_mad_u64_u32 v[12:13], null, s3, v25, v[13:14]
	v_mad_u64_u32 v[13:14], null, s2, v27, 0
	v_pack_b32_f16 v35, v60, v68
	v_add_co_u32 v28, vcc_lo, v0, v16
	v_add_co_ci_u32_e32 v29, vcc_lo, v1, v17, vcc_lo
	v_mov_b32_e32 v16, v12
	v_lshlrev_b64 v[17:18], 2, v[18:19]
	v_mov_b32_e32 v12, v14
	v_pack_b32_f16 v25, v75, v63
	v_pack_b32_f16 v19, v72, v70
	v_lshlrev_b64 v[14:15], 2, v[15:16]
	v_add_f16_e32 v3, v114, v3
	v_add_co_u32 v17, vcc_lo, v0, v17
	v_mad_u64_u32 v[32:33], null, s3, v27, v[12:13]
	v_mov_b32_e32 v12, v31
	v_add_co_ci_u32_e32 v18, vcc_lo, v1, v18, vcc_lo
	v_add_co_u32 v33, vcc_lo, v0, v14
	v_add_co_ci_u32_e32 v34, vcc_lo, v1, v15, vcc_lo
	v_mad_u64_u32 v[15:16], null, s3, v26, v[12:13]
	v_mov_b32_e32 v14, v32
	v_pack_b32_f16 v27, v61, v56
	global_store_dword v[10:11], v35, off
	global_store_dword v[28:29], v25, off
	;; [unrolled: 1-line block ×4, first 2 shown]
	v_mad_u64_u32 v[25:26], null, s2, v23, 0
	v_mov_b32_e32 v31, v15
	v_lshlrev_b64 v[10:11], 2, v[13:14]
	v_mad_u64_u32 v[12:13], null, s2, v22, 0
	v_mad_u64_u32 v[14:15], null, s2, v24, 0
	v_lshlrev_b64 v[16:17], 2, v[30:31]
	v_add_co_u32 v10, vcc_lo, v0, v10
	v_add_co_ci_u32_e32 v11, vcc_lo, v1, v11, vcc_lo
	v_pack_b32_f16 v29, v67, v48
	v_mad_u64_u32 v[18:19], null, s3, v22, v[13:14]
	v_mad_u64_u32 v[27:28], null, s3, v24, v[15:16]
	v_mul_hi_u32 v15, 0x91a2b3c5, v21
	v_mov_b32_e32 v19, v26
	v_add_co_u32 v16, vcc_lo, v0, v16
	v_mov_b32_e32 v13, v18
	v_add_co_ci_u32_e32 v17, vcc_lo, v1, v17, vcc_lo
	v_mad_u64_u32 v[18:19], null, s3, v23, v[19:20]
	v_lshrrev_b32_e32 v24, 9, v15
	v_mov_b32_e32 v15, v27
	v_pack_b32_f16 v22, v74, v49
	global_store_dword v[10:11], v29, off
	v_lshlrev_b64 v[10:11], 2, v[12:13]
	v_mad_u32_u24 v21, 0x708, v24, v21
	v_mov_b32_e32 v26, v18
	v_lshlrev_b64 v[12:13], 2, v[14:15]
	global_store_dword v[16:17], v22, off
	v_mul_hi_u32 v24, 0x91a2b3c5, v20
	v_mad_u64_u32 v[14:15], null, s2, v21, 0
	v_lshlrev_b64 v[16:17], 2, v[25:26]
	v_add_co_u32 v10, vcc_lo, v0, v10
	v_add_co_ci_u32_e32 v11, vcc_lo, v1, v11, vcc_lo
	v_add_co_u32 v12, vcc_lo, v0, v12
	v_add_co_ci_u32_e32 v13, vcc_lo, v1, v13, vcc_lo
	v_mad_u64_u32 v[18:19], null, s3, v21, v[15:16]
	v_pack_b32_f16 v22, v47, v50
	v_add_co_u32 v16, vcc_lo, v0, v16
	v_pack_b32_f16 v19, v62, v66
	v_add_co_ci_u32_e32 v17, vcc_lo, v1, v17, vcc_lo
	v_pack_b32_f16 v23, v94, v84
	global_store_dword v[10:11], v22, off
	global_store_dword v[12:13], v19, off
	;; [unrolled: 1-line block ×3, first 2 shown]
	v_lshrrev_b32_e32 v16, 9, v24
	v_mov_b32_e32 v15, v18
	v_add_nc_u32_e32 v18, 0x384, v21
	v_add_nc_u32_e32 v21, 0x708, v21
	v_pack_b32_f16 v23, v44, v43
	v_mad_u32_u24 v22, 0x708, v16, v20
	v_lshlrev_b64 v[10:11], 2, v[14:15]
	v_mad_u64_u32 v[12:13], null, s2, v18, 0
	v_mad_u64_u32 v[14:15], null, s2, v21, 0
	;; [unrolled: 1-line block ×3, first 2 shown]
	v_add_nc_u32_e32 v24, 0x384, v22
	v_add_co_u32 v10, vcc_lo, v0, v10
	v_add_co_ci_u32_e32 v11, vcc_lo, v1, v11, vcc_lo
	v_mad_u64_u32 v[18:19], null, s3, v18, v[13:14]
	v_mad_u64_u32 v[19:20], null, s3, v21, v[15:16]
	v_mov_b32_e32 v15, v17
	v_mad_u64_u32 v[20:21], null, s2, v24, 0
	global_store_dword v[10:11], v23, off
	v_mov_b32_e32 v13, v18
	v_mad_u64_u32 v[17:18], null, s3, v22, v[15:16]
	v_add_nc_u32_e32 v22, 0x708, v22
	v_mov_b32_e32 v15, v19
	v_lshlrev_b64 v[10:11], 2, v[12:13]
	v_mov_b32_e32 v12, v21
	v_pack_b32_f16 v3, v6, v3
	v_mad_u64_u32 v[18:19], null, s2, v22, 0
	v_lshlrev_b64 v[14:15], 2, v[14:15]
	v_mad_u64_u32 v[12:13], null, s3, v24, v[12:13]
	v_add_co_u32 v10, vcc_lo, v0, v10
	v_lshlrev_b64 v[16:17], 2, v[16:17]
	v_mov_b32_e32 v13, v19
	v_add_co_ci_u32_e32 v11, vcc_lo, v1, v11, vcc_lo
	v_mov_b32_e32 v21, v12
	v_add_co_u32 v12, vcc_lo, v0, v14
	v_mad_u64_u32 v[22:23], null, s3, v22, v[13:14]
	v_pack_b32_f16 v24, v41, v8
	v_add_co_ci_u32_e32 v13, vcc_lo, v1, v15, vcc_lo
	v_pack_b32_f16 v23, v42, v9
	v_lshlrev_b64 v[8:9], 2, v[20:21]
	v_add_co_u32 v14, vcc_lo, v0, v16
	v_mov_b32_e32 v19, v22
	v_add_co_ci_u32_e32 v15, vcc_lo, v1, v17, vcc_lo
	v_add_co_u32 v8, vcc_lo, v0, v8
	v_lshlrev_b64 v[16:17], 2, v[18:19]
	v_add_co_ci_u32_e32 v9, vcc_lo, v1, v9, vcc_lo
	v_pack_b32_f16 v2, v5, v2
	v_pack_b32_f16 v4, v7, v4
	v_add_co_u32 v0, vcc_lo, v0, v16
	v_add_co_ci_u32_e32 v1, vcc_lo, v1, v17, vcc_lo
	global_store_dword v[10:11], v24, off
	global_store_dword v[12:13], v23, off
	;; [unrolled: 1-line block ×5, first 2 shown]
.LBB0_15:
	s_endpgm
	.section	.rodata,"a",@progbits
	.p2align	6, 0x0
	.amdhsa_kernel fft_rtc_fwd_len2700_factors_3_10_10_3_3_wgs_90_tpt_90_halfLds_half_ip_CI_sbrr_dirReg
		.amdhsa_group_segment_fixed_size 0
		.amdhsa_private_segment_fixed_size 0
		.amdhsa_kernarg_size 88
		.amdhsa_user_sgpr_count 6
		.amdhsa_user_sgpr_private_segment_buffer 1
		.amdhsa_user_sgpr_dispatch_ptr 0
		.amdhsa_user_sgpr_queue_ptr 0
		.amdhsa_user_sgpr_kernarg_segment_ptr 1
		.amdhsa_user_sgpr_dispatch_id 0
		.amdhsa_user_sgpr_flat_scratch_init 0
		.amdhsa_user_sgpr_private_segment_size 0
		.amdhsa_wavefront_size32 1
		.amdhsa_uses_dynamic_stack 0
		.amdhsa_system_sgpr_private_segment_wavefront_offset 0
		.amdhsa_system_sgpr_workgroup_id_x 1
		.amdhsa_system_sgpr_workgroup_id_y 0
		.amdhsa_system_sgpr_workgroup_id_z 0
		.amdhsa_system_sgpr_workgroup_info 0
		.amdhsa_system_vgpr_workitem_id 0
		.amdhsa_next_free_vgpr 164
		.amdhsa_next_free_sgpr 23
		.amdhsa_reserve_vcc 1
		.amdhsa_reserve_flat_scratch 0
		.amdhsa_float_round_mode_32 0
		.amdhsa_float_round_mode_16_64 0
		.amdhsa_float_denorm_mode_32 3
		.amdhsa_float_denorm_mode_16_64 3
		.amdhsa_dx10_clamp 1
		.amdhsa_ieee_mode 1
		.amdhsa_fp16_overflow 0
		.amdhsa_workgroup_processor_mode 1
		.amdhsa_memory_ordered 1
		.amdhsa_forward_progress 0
		.amdhsa_shared_vgpr_count 0
		.amdhsa_exception_fp_ieee_invalid_op 0
		.amdhsa_exception_fp_denorm_src 0
		.amdhsa_exception_fp_ieee_div_zero 0
		.amdhsa_exception_fp_ieee_overflow 0
		.amdhsa_exception_fp_ieee_underflow 0
		.amdhsa_exception_fp_ieee_inexact 0
		.amdhsa_exception_int_div_zero 0
	.end_amdhsa_kernel
	.text
.Lfunc_end0:
	.size	fft_rtc_fwd_len2700_factors_3_10_10_3_3_wgs_90_tpt_90_halfLds_half_ip_CI_sbrr_dirReg, .Lfunc_end0-fft_rtc_fwd_len2700_factors_3_10_10_3_3_wgs_90_tpt_90_halfLds_half_ip_CI_sbrr_dirReg
                                        ; -- End function
	.section	.AMDGPU.csdata,"",@progbits
; Kernel info:
; codeLenInByte = 21604
; NumSgprs: 25
; NumVgprs: 164
; ScratchSize: 0
; MemoryBound: 0
; FloatMode: 240
; IeeeMode: 1
; LDSByteSize: 0 bytes/workgroup (compile time only)
; SGPRBlocks: 3
; VGPRBlocks: 20
; NumSGPRsForWavesPerEU: 25
; NumVGPRsForWavesPerEU: 164
; Occupancy: 5
; WaveLimiterHint : 1
; COMPUTE_PGM_RSRC2:SCRATCH_EN: 0
; COMPUTE_PGM_RSRC2:USER_SGPR: 6
; COMPUTE_PGM_RSRC2:TRAP_HANDLER: 0
; COMPUTE_PGM_RSRC2:TGID_X_EN: 1
; COMPUTE_PGM_RSRC2:TGID_Y_EN: 0
; COMPUTE_PGM_RSRC2:TGID_Z_EN: 0
; COMPUTE_PGM_RSRC2:TIDIG_COMP_CNT: 0
	.text
	.p2alignl 6, 3214868480
	.fill 48, 4, 3214868480
	.type	__hip_cuid_c96c28bf6422c56b,@object ; @__hip_cuid_c96c28bf6422c56b
	.section	.bss,"aw",@nobits
	.globl	__hip_cuid_c96c28bf6422c56b
__hip_cuid_c96c28bf6422c56b:
	.byte	0                               ; 0x0
	.size	__hip_cuid_c96c28bf6422c56b, 1

	.ident	"AMD clang version 19.0.0git (https://github.com/RadeonOpenCompute/llvm-project roc-6.4.0 25133 c7fe45cf4b819c5991fe208aaa96edf142730f1d)"
	.section	".note.GNU-stack","",@progbits
	.addrsig
	.addrsig_sym __hip_cuid_c96c28bf6422c56b
	.amdgpu_metadata
---
amdhsa.kernels:
  - .args:
      - .actual_access:  read_only
        .address_space:  global
        .offset:         0
        .size:           8
        .value_kind:     global_buffer
      - .offset:         8
        .size:           8
        .value_kind:     by_value
      - .actual_access:  read_only
        .address_space:  global
        .offset:         16
        .size:           8
        .value_kind:     global_buffer
      - .actual_access:  read_only
        .address_space:  global
        .offset:         24
        .size:           8
        .value_kind:     global_buffer
      - .offset:         32
        .size:           8
        .value_kind:     by_value
      - .actual_access:  read_only
        .address_space:  global
        .offset:         40
        .size:           8
        .value_kind:     global_buffer
      - .actual_access:  read_only
        .address_space:  global
        .offset:         48
        .size:           8
        .value_kind:     global_buffer
      - .offset:         56
        .size:           4
        .value_kind:     by_value
      - .actual_access:  read_only
        .address_space:  global
        .offset:         64
        .size:           8
        .value_kind:     global_buffer
      - .actual_access:  read_only
        .address_space:  global
        .offset:         72
        .size:           8
        .value_kind:     global_buffer
      - .address_space:  global
        .offset:         80
        .size:           8
        .value_kind:     global_buffer
    .group_segment_fixed_size: 0
    .kernarg_segment_align: 8
    .kernarg_segment_size: 88
    .language:       OpenCL C
    .language_version:
      - 2
      - 0
    .max_flat_workgroup_size: 90
    .name:           fft_rtc_fwd_len2700_factors_3_10_10_3_3_wgs_90_tpt_90_halfLds_half_ip_CI_sbrr_dirReg
    .private_segment_fixed_size: 0
    .sgpr_count:     25
    .sgpr_spill_count: 0
    .symbol:         fft_rtc_fwd_len2700_factors_3_10_10_3_3_wgs_90_tpt_90_halfLds_half_ip_CI_sbrr_dirReg.kd
    .uniform_work_group_size: 1
    .uses_dynamic_stack: false
    .vgpr_count:     164
    .vgpr_spill_count: 0
    .wavefront_size: 32
    .workgroup_processor_mode: 1
amdhsa.target:   amdgcn-amd-amdhsa--gfx1030
amdhsa.version:
  - 1
  - 2
...

	.end_amdgpu_metadata
